;; amdgpu-corpus repo=ROCm/rocFFT kind=compiled arch=gfx906 opt=O3
	.text
	.amdgcn_target "amdgcn-amd-amdhsa--gfx906"
	.amdhsa_code_object_version 6
	.protected	bluestein_single_back_len17_dim1_half_op_CI_CI ; -- Begin function bluestein_single_back_len17_dim1_half_op_CI_CI
	.globl	bluestein_single_back_len17_dim1_half_op_CI_CI
	.p2align	8
	.type	bluestein_single_back_len17_dim1_half_op_CI_CI,@function
bluestein_single_back_len17_dim1_half_op_CI_CI: ; @bluestein_single_back_len17_dim1_half_op_CI_CI
; %bb.0:
	s_load_dwordx4 s[8:11], s[4:5], 0x28
	s_mulk_i32 s6, 0x78
	v_add_u32_e32 v20, s6, v0
	v_mov_b32_e32 v21, 0
	s_movk_i32 s17, 0x78
	s_waitcnt lgkmcnt(0)
	v_cmp_gt_u64_e32 vcc, s[8:9], v[20:21]
	s_and_saveexec_b64 s[0:1], vcc
	s_cbranch_execz .LBB0_2
; %bb.1:
	s_load_dwordx4 s[12:15], s[4:5], 0x18
	s_load_dwordx2 s[6:7], s[4:5], 0x0
	v_mov_b32_e32 v3, s11
	v_mov_b32_e32 v22, 0xffff
	s_mov_b32 s16, 0xffff
	s_waitcnt lgkmcnt(0)
	s_load_dwordx4 s[0:3], s[12:13], 0x0
	global_load_dwordx4 v[16:19], v21, s[6:7]
	s_mov_b32 s21, 0xb964
	s_movk_i32 s23, 0x3964
	s_mov_b32 s18, 0xbb29
	s_waitcnt lgkmcnt(0)
	v_mad_u64_u32 v[0:1], s[8:9], s2, v20, 0
	s_movk_i32 s19, 0x3b29
	s_mov_b32 s28, 0xbbf7
	v_mad_u64_u32 v[1:2], s[2:3], s3, v20, v[1:2]
	s_lshl_b64 s[2:3], s[0:1], 2
	v_mov_b32_e32 v4, s3
	v_lshlrev_b64 v[0:1], 2, v[0:1]
	s_mov_b32 s20, 0xba62
	v_add_co_u32_e32 v0, vcc, s10, v0
	v_addc_co_u32_e32 v1, vcc, v3, v1, vcc
	v_add_co_u32_e32 v2, vcc, s2, v0
	v_addc_co_u32_e32 v3, vcc, v1, v4, vcc
	global_load_dword v34, v[0:1], off
	global_load_dword v35, v[2:3], off
	global_load_dwordx4 v[12:15], v21, s[6:7] offset:16
	s_mov_b32 s2, 0x88888889
	v_mul_hi_u32 v2, v20, s2
	s_load_dwordx4 s[8:11], s[14:15], 0x0
	s_lshl_b64 s[14:15], s[0:1], 6
	v_mov_b32_e32 v27, s15
	v_lshrrev_b32_e32 v4, 6, v2
	v_mad_u64_u32 v[2:3], s[2:3], s0, 12, v[0:1]
	v_mul_lo_u32 v6, v4, s17
	s_lshl_b64 s[2:3], s[0:1], 3
	v_mad_u64_u32 v[3:4], s[12:13], s1, 12, v[3:4]
	v_mov_b32_e32 v5, s3
	v_add_co_u32_e32 v4, vcc, s2, v0
	v_addc_co_u32_e32 v5, vcc, v1, v5, vcc
	global_load_dword v36, v[2:3], off
	global_load_dword v37, v[4:5], off
	v_sub_u32_e32 v2, v20, v6
	s_lshl_b64 s[2:3], s[0:1], 4
	v_mul_u32_u24_e32 v23, 0x44, v2
	v_mov_b32_e32 v3, s3
	v_add_co_u32_e32 v2, vcc, s2, v0
	v_mad_u64_u32 v[4:5], s[2:3], s0, 20, v[0:1]
	v_mad_u64_u32 v[6:7], s[2:3], s0, 24, v[0:1]
	;; [unrolled: 1-line block ×3, first 2 shown]
	s_lshl_b64 s[12:13], s[0:1], 5
	v_addc_co_u32_e32 v3, vcc, v1, v3, vcc
	v_mad_u64_u32 v[24:25], s[2:3], s0, 60, v[0:1]
	v_mov_b32_e32 v9, s13
	v_add_co_u32_e32 v8, vcc, s12, v0
	v_addc_co_u32_e32 v9, vcc, v1, v9, vcc
	v_mad_u64_u32 v[30:31], s[2:3], s1, 20, v[5:6]
	v_add_co_u32_e32 v26, vcc, s14, v0
	v_addc_co_u32_e32 v27, vcc, v1, v27, vcc
	v_mov_b32_e32 v5, v30
	v_mad_u64_u32 v[28:29], s[2:3], s0, 28, v[0:1]
	s_mov_b32 s12, 0xb8d2
	s_mov_b32 s14, 0xbbdd
	;; [unrolled: 1-line block ×5, first 2 shown]
	s_movk_i32 s22, 0x3a62
	s_mov_b32 s24, 0xb836
	s_waitcnt vmcnt(5)
	v_lshrrev_b32_e32 v30, 16, v19
	s_movk_i32 s25, 0x3836
	s_mov_b32 s26, 0xb5c8
	s_movk_i32 s27, 0x35c8
	s_movk_i32 s29, 0x31e1
	s_waitcnt vmcnt(2)
	v_mad_u64_u32 v[31:32], s[2:3], s1, 56, v[11:12]
	v_mad_u64_u32 v[32:33], s[2:3], s1, 60, v[25:26]
	global_load_dword v33, v[2:3], off
	global_load_dword v38, v[8:9], off
	;; [unrolled: 1-line block ×3, first 2 shown]
	v_mov_b32_e32 v11, v31
	v_lshrrev_b32_e32 v31, 16, v17
	v_and_b32_sdwa v3, v22, v16 dst_sel:DWORD dst_unused:UNUSED_PAD src0_sel:DWORD src1_sel:WORD_1
	v_mov_b32_e32 v25, v32
	global_load_dword v32, v[10:11], off
	global_load_dword v40, v[24:25], off
	v_and_b32_e32 v2, 0xffff, v16
	v_lshl_or_b32 v3, v31, 16, v3
	global_load_dword v26, v[4:5], off
	v_bfi_b32 v4, s16, v34, v35
	v_lshl_or_b32 v2, v17, 16, v2
	v_alignbit_b32 v5, v35, v34, 16
	v_pk_mul_f16 v11, v3, v4
	v_pk_mul_f16 v10, v2, v5
	v_pk_fma_f16 v5, v2, v5, v11
	v_mov_b32_e32 v2, v7
	v_mad_u64_u32 v[2:3], s[2:3], s1, 24, v[2:3]
	v_mov_b32_e32 v3, v29
	v_mad_u64_u32 v[3:4], s[2:3], s1, 28, v[3:4]
	v_mul_f16_sdwa v8, v16, v34 dst_sel:DWORD dst_unused:UNUSED_PAD src0_sel:WORD_1 src1_sel:WORD_1
	v_mov_b32_e32 v7, v2
	v_fma_f16 v8, v16, v34, v8
	v_mov_b32_e32 v29, v3
	global_load_dword v27, v[6:7], off
	global_load_dword v34, v[28:29], off
	v_lshrrev_b32_e32 v9, 16, v35
	v_mul_f16_e32 v4, v31, v35
	v_fma_f16 v4, v17, v9, -v4
	v_sub_f16_e32 v2, v10, v11
	v_alignbit_b32 v3, v4, v5, 16
	v_pack_b32_f16 v2, v8, v2
	ds_write2_b32 v23, v2, v3 offset1:1
	v_mad_u64_u32 v[2:3], s[2:3], s0, 36, v[0:1]
	s_waitcnt vmcnt(8)
	v_mul_f16_sdwa v4, v18, v37 dst_sel:DWORD dst_unused:UNUSED_PAD src0_sel:WORD_1 src1_sel:WORD_1
	v_fma_f16 v35, v18, v37, v4
	v_and_b32_e32 v4, 0xffff, v18
	v_bfi_b32 v5, s16, v37, v36
	v_alignbit_b32 v29, v36, v37, 16
	v_lshl_or_b32 v37, v19, 16, v4
	v_mad_u64_u32 v[3:4], s[2:3], s1, 36, v[3:4]
	v_and_b32_sdwa v4, v22, v18 dst_sel:DWORD dst_unused:UNUSED_PAD src0_sel:DWORD src1_sel:WORD_1
	v_lshl_or_b32 v4, v30, 16, v4
	global_load_dwordx4 v[8:11], v21, s[6:7] offset:32
	global_load_dword v42, v[2:3], off
	v_mad_u64_u32 v[2:3], s[2:3], s0, 40, v[0:1]
	v_pk_mul_f16 v43, v4, v5
	v_mad_u64_u32 v[4:5], s[2:3], s0, 44, v[0:1]
	v_lshrrev_b32_e32 v28, 16, v36
	v_pk_mul_f16 v41, v37, v29
	v_mad_u64_u32 v[6:7], s[2:3], s1, 40, v[3:4]
	v_mov_b32_e32 v3, v5
	v_mad_u64_u32 v[24:25], s[2:3], s1, 44, v[3:4]
	v_mul_f16_e32 v25, v30, v36
	v_mov_b32_e32 v3, v6
	v_pk_fma_f16 v7, v37, v29, v43
	v_mov_b32_e32 v5, v24
	global_load_dword v36, v[2:3], off
	global_load_dword v37, v[4:5], off
	v_fma_f16 v2, v19, v28, -v25
	v_alignbit_b32 v5, v2, v7, 16
	v_mad_u64_u32 v[2:3], s[2:3], s0, 48, v[0:1]
	v_mad_u64_u32 v[0:1], s[2:3], s0, 52, v[0:1]
	v_sub_f16_e32 v4, v41, v43
	v_pack_b32_f16 v6, v35, v4
	v_mad_u64_u32 v[3:4], s[2:3], s1, 48, v[3:4]
	v_mad_u64_u32 v[24:25], s[0:1], s1, 52, v[1:2]
	ds_write2_b32 v23, v6, v5 offset0:2 offset1:3
	global_load_dwordx4 v[4:7], v21, s[6:7] offset:48
	v_mov_b32_e32 v1, v24
	global_load_dword v35, v[2:3], off
	global_load_dword v41, v[0:1], off
	s_waitcnt vmcnt(14)
	v_mul_f16_sdwa v3, v12, v33 dst_sel:DWORD dst_unused:UNUSED_PAD src0_sel:WORD_1 src1_sel:WORD_1
	v_lshrrev_b32_e32 v29, 16, v13
	v_fma_f16 v3, v12, v33, v3
	v_and_b32_e32 v24, 0xffff, v12
	v_lshl_or_b32 v24, v13, 16, v24
	v_lshrrev_b32_e32 v28, 16, v15
	s_movk_i32 s2, 0x3b76
	s_movk_i32 s0, 0x39e9
	;; [unrolled: 1-line block ×3, first 2 shown]
	s_waitcnt vmcnt(9)
	v_bfi_b32 v1, s16, v33, v26
	v_alignbit_b32 v2, v26, v33, 16
	v_and_b32_sdwa v33, v22, v12 dst_sel:DWORD dst_unused:UNUSED_PAD src0_sel:DWORD src1_sel:WORD_1
	v_lshl_or_b32 v33, v29, 16, v33
	v_pk_mul_f16 v1, v33, v1
	v_lshrrev_b32_e32 v0, 16, v26
	v_pk_mul_f16 v25, v24, v2
	v_pk_fma_f16 v2, v24, v2, v1
	v_mul_f16_e32 v24, v29, v26
	v_fma_f16 v0, v13, v0, -v24
	v_sub_f16_e32 v1, v25, v1
	v_alignbit_b32 v0, v0, v2, 16
	v_pack_b32_f16 v1, v3, v1
	v_and_b32_sdwa v26, v22, v14 dst_sel:DWORD dst_unused:UNUSED_PAD src0_sel:DWORD src1_sel:WORD_1
	ds_write2_b32 v23, v1, v0 offset0:4 offset1:5
	v_lshl_or_b32 v26, v28, 16, v26
	s_waitcnt vmcnt(8)
	v_mul_f16_sdwa v3, v14, v27 dst_sel:DWORD dst_unused:UNUSED_PAD src0_sel:WORD_1 src1_sel:WORD_1
	s_waitcnt vmcnt(7)
	v_bfi_b32 v1, s16, v27, v34
	v_fma_f16 v24, v14, v27, v3
	v_and_b32_e32 v3, 0xffff, v14
	v_alignbit_b32 v2, v34, v27, 16
	v_lshl_or_b32 v3, v15, 16, v3
	v_pk_mul_f16 v1, v26, v1
	v_lshrrev_b32_e32 v0, 16, v34
	v_pk_mul_f16 v25, v3, v2
	v_pk_fma_f16 v2, v3, v2, v1
	v_mul_f16_e32 v3, v28, v34
	v_fma_f16 v0, v15, v0, -v3
	v_sub_f16_e32 v25, v25, v1
	v_alignbit_b32 v26, v0, v2, 16
	global_load_dwordx4 v[0:3], v21, s[6:7] offset:64
	v_pack_b32_f16 v24, v24, v25
	ds_write2_b32 v23, v24, v26 offset0:6 offset1:7
	s_movk_i32 s3, 0x3722
	s_waitcnt vmcnt(7)
	v_lshrrev_b32_e32 v27, 16, v9
	v_mul_f16_sdwa v34, v8, v38 dst_sel:DWORD dst_unused:UNUSED_PAD src0_sel:WORD_1 src1_sel:WORD_1
	v_and_b32_sdwa v44, v22, v8 dst_sel:DWORD dst_unused:UNUSED_PAD src0_sel:DWORD src1_sel:WORD_1
	s_waitcnt vmcnt(6)
	v_bfi_b32 v25, s16, v38, v42
	v_alignbit_b32 v33, v42, v38, 16
	v_fma_f16 v34, v8, v38, v34
	v_and_b32_e32 v38, 0xffff, v8
	v_lshl_or_b32 v44, v27, 16, v44
	v_lshl_or_b32 v38, v9, 16, v38
	v_pk_mul_f16 v25, v44, v25
	v_lshrrev_b32_e32 v24, 16, v42
	v_pk_mul_f16 v43, v38, v33
	v_pk_fma_f16 v33, v38, v33, v25
	v_mul_f16_e32 v38, v27, v42
	v_fma_f16 v24, v9, v24, -v38
	v_sub_f16_e32 v25, v43, v25
	v_lshrrev_b32_e32 v26, 16, v11
	v_alignbit_b32 v24, v24, v33, 16
	v_pack_b32_f16 v25, v34, v25
	s_waitcnt vmcnt(5)
	v_mul_f16_sdwa v34, v10, v36 dst_sel:DWORD dst_unused:UNUSED_PAD src0_sel:WORD_1 src1_sel:WORD_1
	v_and_b32_sdwa v42, v22, v10 dst_sel:DWORD dst_unused:UNUSED_PAD src0_sel:DWORD src1_sel:WORD_1
	ds_write2_b32 v23, v25, v24 offset0:8 offset1:9
	s_waitcnt vmcnt(4)
	v_bfi_b32 v25, s16, v36, v37
	v_alignbit_b32 v33, v37, v36, 16
	v_fma_f16 v34, v10, v36, v34
	v_and_b32_e32 v36, 0xffff, v10
	v_lshl_or_b32 v42, v26, 16, v42
	v_lshl_or_b32 v36, v11, 16, v36
	v_pk_mul_f16 v25, v42, v25
	v_lshrrev_b32_e32 v24, 16, v37
	v_pk_mul_f16 v38, v36, v33
	v_pk_fma_f16 v33, v36, v33, v25
	v_mul_f16_e32 v36, v26, v37
	v_fma_f16 v24, v11, v24, -v36
	v_sub_f16_e32 v25, v38, v25
	v_alignbit_b32 v24, v24, v33, 16
	v_pack_b32_f16 v25, v34, v25
	ds_write2_b32 v23, v25, v24 offset0:10 offset1:11
	s_waitcnt vmcnt(3)
	v_lshrrev_b32_e32 v25, 16, v5
	s_waitcnt vmcnt(2)
	v_mul_f16_sdwa v37, v4, v35 dst_sel:DWORD dst_unused:UNUSED_PAD src0_sel:WORD_1 src1_sel:WORD_1
	v_and_b32_sdwa v42, v22, v4 dst_sel:DWORD dst_unused:UNUSED_PAD src0_sel:DWORD src1_sel:WORD_1
	s_waitcnt vmcnt(1)
	v_bfi_b32 v34, s16, v35, v41
	v_alignbit_b32 v36, v41, v35, 16
	v_fma_f16 v35, v4, v35, v37
	v_and_b32_e32 v37, 0xffff, v4
	v_lshl_or_b32 v42, v25, 16, v42
	v_lshl_or_b32 v37, v5, 16, v37
	v_pk_mul_f16 v34, v42, v34
	v_lshrrev_b32_e32 v33, 16, v41
	v_pk_mul_f16 v38, v37, v36
	v_pk_fma_f16 v36, v37, v36, v34
	v_mul_f16_e32 v37, v25, v41
	v_fma_f16 v33, v5, v33, -v37
	v_sub_f16_e32 v34, v38, v34
	v_lshrrev_b32_e32 v24, 16, v7
	v_alignbit_b32 v33, v33, v36, 16
	v_pack_b32_f16 v34, v35, v34
	v_mul_f16_sdwa v36, v6, v32 dst_sel:DWORD dst_unused:UNUSED_PAD src0_sel:WORD_1 src1_sel:WORD_1
	v_and_b32_sdwa v22, v22, v6 dst_sel:DWORD dst_unused:UNUSED_PAD src0_sel:DWORD src1_sel:WORD_1
	ds_write2_b32 v23, v34, v33 offset0:12 offset1:13
	v_bfi_b32 v34, s16, v32, v40
	v_alignbit_b32 v35, v40, v32, 16
	v_fma_f16 v32, v6, v32, v36
	v_and_b32_e32 v36, 0xffff, v6
	v_lshl_or_b32 v22, v24, 16, v22
	v_lshl_or_b32 v36, v7, 16, v36
	v_pk_mul_f16 v22, v22, v34
	v_lshrrev_b32_e32 v33, 16, v40
	v_pk_mul_f16 v37, v36, v35
	v_pk_fma_f16 v34, v36, v35, v22
	v_mul_f16_e32 v35, v24, v40
	v_fma_f16 v33, v7, v33, -v35
	v_sub_f16_e32 v22, v37, v22
	v_alignbit_b32 v33, v33, v34, 16
	v_pack_b32_f16 v22, v32, v22
	ds_write2_b32 v23, v22, v33 offset0:14 offset1:15
	v_lshrrev_b32_e32 v22, 16, v39
	s_waitcnt vmcnt(0)
	v_mul_f16_sdwa v32, v0, v22 dst_sel:DWORD dst_unused:UNUSED_PAD src0_sel:WORD_1 src1_sel:DWORD
	v_mul_f16_sdwa v33, v0, v39 dst_sel:DWORD dst_unused:UNUSED_PAD src0_sel:WORD_1 src1_sel:DWORD
	v_fma_f16 v32, v0, v39, v32
	v_fma_f16 v22, v0, v22, -v33
	v_pack_b32_f16 v22, v32, v22
	ds_write_b32 v23, v22 offset:64
	s_waitcnt lgkmcnt(0)
	s_barrier
	ds_read2_b32 v[47:48], v23 offset0:5 offset1:6
	ds_read2_b32 v[49:50], v23 offset0:11 offset1:12
	;; [unrolled: 1-line block ×4, first 2 shown]
	ds_read_b32 v44, v23
	ds_read2_b32 v[58:59], v23 offset0:1 offset1:2
	ds_read2_b32 v[45:46], v23 offset0:7 offset1:8
	;; [unrolled: 1-line block ×3, first 2 shown]
	s_waitcnt lgkmcnt(6)
	v_add_f16_e32 v39, v50, v47
	v_add_f16_sdwa v40, v50, v47 dst_sel:DWORD dst_unused:UNUSED_PAD src0_sel:WORD_1 src1_sel:WORD_1
	s_waitcnt lgkmcnt(2)
	v_add_f16_e32 v38, v58, v44
	v_add_f16_sdwa v55, v58, v44 dst_sel:DWORD dst_unused:UNUSED_PAD src0_sel:WORD_1 src1_sel:WORD_1
	v_add_f16_e32 v38, v38, v59
	v_add_f16_sdwa v55, v55, v59 dst_sel:DWORD dst_unused:UNUSED_PAD src0_sel:DWORD src1_sel:WORD_1
	v_add_f16_e32 v38, v38, v51
	v_add_f16_sdwa v55, v55, v51 dst_sel:DWORD dst_unused:UNUSED_PAD src0_sel:DWORD src1_sel:WORD_1
	;; [unrolled: 2-line block ×3, first 2 shown]
	v_sub_f16_e32 v41, v47, v50
	v_sub_f16_sdwa v42, v47, v50 dst_sel:DWORD dst_unused:UNUSED_PAD src0_sel:WORD_1 src1_sel:WORD_1
	v_add_f16_e32 v38, v38, v47
	v_add_f16_sdwa v47, v55, v47 dst_sel:DWORD dst_unused:UNUSED_PAD src0_sel:DWORD src1_sel:WORD_1
	v_add_f16_e32 v38, v38, v48
	v_add_f16_sdwa v47, v47, v48 dst_sel:DWORD dst_unused:UNUSED_PAD src0_sel:DWORD src1_sel:WORD_1
	s_waitcnt lgkmcnt(0)
	v_add_f16_e32 v34, v54, v45
	v_add_f16_sdwa v35, v54, v45 dst_sel:DWORD dst_unused:UNUSED_PAD src0_sel:WORD_1 src1_sel:WORD_1
	v_sub_f16_e32 v36, v45, v54
	v_sub_f16_sdwa v37, v45, v54 dst_sel:DWORD dst_unused:UNUSED_PAD src0_sel:WORD_1 src1_sel:WORD_1
	v_add_f16_e32 v38, v38, v45
	v_add_f16_sdwa v45, v47, v45 dst_sel:DWORD dst_unused:UNUSED_PAD src0_sel:DWORD src1_sel:WORD_1
	v_add_f16_e32 v47, v38, v46
	v_add_f16_sdwa v55, v45, v46 dst_sel:DWORD dst_unused:UNUSED_PAD src0_sel:DWORD src1_sel:WORD_1
	v_add_f16_e32 v22, v53, v46
	v_add_f16_sdwa v32, v53, v46 dst_sel:DWORD dst_unused:UNUSED_PAD src0_sel:WORD_1 src1_sel:WORD_1
	v_sub_f16_e32 v33, v46, v53
	v_sub_f16_sdwa v38, v46, v53 dst_sel:DWORD dst_unused:UNUSED_PAD src0_sel:WORD_1 src1_sel:WORD_1
	v_add_f16_e32 v46, v47, v53
	v_add_f16_sdwa v47, v55, v53 dst_sel:DWORD dst_unused:UNUSED_PAD src0_sel:DWORD src1_sel:WORD_1
	ds_read2_b32 v[60:61], v23 offset0:15 offset1:16
	v_add_f16_e32 v55, v46, v54
	v_add_f16_sdwa v54, v47, v54 dst_sel:DWORD dst_unused:UNUSED_PAD src0_sel:DWORD src1_sel:WORD_1
	v_add_f16_e32 v45, v49, v48
	v_add_f16_sdwa v46, v49, v48 dst_sel:DWORD dst_unused:UNUSED_PAD src0_sel:WORD_1 src1_sel:WORD_1
	v_sub_f16_e32 v47, v48, v49
	v_sub_f16_sdwa v48, v48, v49 dst_sel:DWORD dst_unused:UNUSED_PAD src0_sel:WORD_1 src1_sel:WORD_1
	v_add_f16_e32 v55, v55, v49
	v_add_f16_sdwa v49, v54, v49 dst_sel:DWORD dst_unused:UNUSED_PAD src0_sel:DWORD src1_sel:WORD_1
	v_add_f16_e32 v62, v55, v50
	v_add_f16_sdwa v63, v49, v50 dst_sel:DWORD dst_unused:UNUSED_PAD src0_sel:DWORD src1_sel:WORD_1
	v_add_f16_e32 v43, v57, v51
	v_add_f16_sdwa v53, v57, v51 dst_sel:DWORD dst_unused:UNUSED_PAD src0_sel:WORD_1 src1_sel:WORD_1
	v_sub_f16_e32 v54, v51, v57
	v_sub_f16_sdwa v55, v51, v57 dst_sel:DWORD dst_unused:UNUSED_PAD src0_sel:WORD_1 src1_sel:WORD_1
	v_add_f16_e32 v49, v56, v52
	v_add_f16_sdwa v50, v56, v52 dst_sel:DWORD dst_unused:UNUSED_PAD src0_sel:WORD_1 src1_sel:WORD_1
	v_sub_f16_e32 v51, v52, v56
	v_sub_f16_sdwa v52, v52, v56 dst_sel:DWORD dst_unused:UNUSED_PAD src0_sel:WORD_1 src1_sel:WORD_1
	v_add_f16_e32 v62, v62, v56
	v_add_f16_sdwa v56, v63, v56 dst_sel:DWORD dst_unused:UNUSED_PAD src0_sel:DWORD src1_sel:WORD_1
	v_add_f16_sdwa v56, v56, v57 dst_sel:DWORD dst_unused:UNUSED_PAD src0_sel:DWORD src1_sel:WORD_1
	s_waitcnt lgkmcnt(0)
	v_sub_f16_sdwa v70, v58, v61 dst_sel:DWORD dst_unused:UNUSED_PAD src0_sel:WORD_1 src1_sel:WORD_1
	v_add_f16_e32 v67, v61, v58
	v_sub_f16_sdwa v65, v59, v60 dst_sel:DWORD dst_unused:UNUSED_PAD src0_sel:WORD_1 src1_sel:WORD_1
	v_add_f16_sdwa v56, v56, v60 dst_sel:DWORD dst_unused:UNUSED_PAD src0_sel:DWORD src1_sel:WORD_1
	v_mul_f16_e32 v72, 0xb5c8, v70
	v_add_f16_e32 v66, v62, v57
	v_sub_f16_e32 v69, v58, v61
	v_add_f16_e32 v62, v60, v59
	v_add_f16_sdwa v71, v56, v61 dst_sel:WORD_1 dst_unused:UNUSED_PAD src0_sel:DWORD src1_sel:WORD_1
	v_fma_f16 v56, v67, s2, -v72
	v_mul_f16_e32 v73, 0xb964, v65
	v_add_f16_sdwa v68, v61, v58 dst_sel:DWORD dst_unused:UNUSED_PAD src0_sel:WORD_1 src1_sel:WORD_1
	v_sub_f16_e32 v64, v59, v60
	v_add_f16_e32 v56, v56, v44
	v_fma_f16 v58, v62, s0, -v73
	v_mul_f16_e32 v74, 0xb5c8, v69
	v_add_f16_sdwa v63, v60, v59 dst_sel:DWORD dst_unused:UNUSED_PAD src0_sel:WORD_1 src1_sel:WORD_1
	v_add_f16_e32 v56, v58, v56
	v_fma_f16 v58, v68, s2, v74
	v_mul_f16_e32 v75, 0xb964, v64
	v_add_f16_sdwa v58, v58, v44 dst_sel:DWORD dst_unused:UNUSED_PAD src0_sel:DWORD src1_sel:WORD_1
	v_fma_f16 v59, v63, s0, v75
	v_mul_f16_e32 v76, 0xb964, v70
	v_add_f16_e32 v58, v59, v58
	v_fma_f16 v59, v67, s0, -v76
	v_mul_f16_e32 v77, 0xbbf7, v65
	v_add_f16_e32 v57, v66, v60
	v_add_f16_e32 v59, v59, v44
	v_fma_f16 v60, v62, s1, -v77
	v_mul_f16_e32 v78, 0xb964, v69
	v_add_f16_e32 v59, v60, v59
	v_fma_f16 v60, v68, s0, v78
	v_mul_f16_e32 v79, 0xbbf7, v64
	v_add_f16_e32 v57, v57, v61
	v_add_f16_sdwa v60, v60, v44 dst_sel:DWORD dst_unused:UNUSED_PAD src0_sel:DWORD src1_sel:WORD_1
	v_fma_f16 v61, v63, s1, v79
	v_mul_f16_e32 v80, 0xbb29, v55
	v_add_f16_e32 v60, v61, v60
	v_fma_f16 v61, v43, s3, -v80
	v_mul_f16_e32 v81, 0xbb29, v54
	v_add_f16_e32 v56, v61, v56
	v_fma_f16 v61, v53, s3, v81
	v_mul_f16_e32 v82, 0xba62, v55
	v_add_f16_e32 v58, v61, v58
	v_fma_f16 v61, v43, s12, -v82
	v_mul_f16_e32 v83, 0xba62, v54
	v_add_f16_e32 v59, v61, v59
	;; [unrolled: 6-line block ×8, first 2 shown]
	v_fma_f16 v58, v46, s13, v94
	v_add_f16_e32 v60, v58, v60
	v_mul_f16_e32 v58, 0xb836, v37
	v_fma_f16 v95, v34, s15, -v58
	v_mul_f16_e32 v96, 0xb836, v36
	v_add_f16_e32 v95, v95, v56
	v_fma_f16 v56, v35, s15, v96
	v_mul_f16_e32 v97, 0x3b29, v37
	v_add_f16_e32 v61, v56, v61
	v_fma_f16 v56, v34, s3, -v97
	v_mul_f16_e32 v99, 0x3b29, v36
	v_add_f16_e32 v98, v56, v59
	v_fma_f16 v56, v35, s3, v99
	v_add_f16_e32 v100, v56, v60
	v_mul_f16_e32 v56, 0xb1e1, v38
	v_fma_f16 v59, v22, s14, -v56
	v_add_f16_e32 v95, v59, v95
	v_mul_f16_e32 v59, 0xb1e1, v33
	v_fma_f16 v60, v32, s14, v59
	v_add_f16_e32 v101, v60, v61
	v_mul_f16_e32 v60, 0x35c8, v38
	v_fma_f16 v61, v22, s2, -v60
	v_add_f16_e32 v98, v61, v98
	v_mul_f16_e32 v61, 0x35c8, v33
	v_fma_f16 v102, v32, s2, v61
	v_add_f16_e32 v100, v102, v100
	v_pack_b32_f16 v98, v98, v100
	v_pack_b32_f16 v95, v95, v101
	ds_write2_b32 v23, v95, v98 offset0:1 offset1:2
	v_mul_f16_e32 v98, 0xbb29, v69
	v_mul_f16_e32 v103, 0xbbf7, v69
	;; [unrolled: 1-line block ×5, first 2 shown]
	v_or_b32_e32 v57, v71, v57
	v_fma_f16 v71, v67, s2, v72
	v_fma_f16 v72, v68, s2, -v74
	v_fma_f16 v74, v67, s0, v76
	v_fma_f16 v76, v68, s0, -v78
	v_mul_f16_e32 v78, 0xbb29, v70
	v_fma_f16 v100, v68, s3, v98
	v_fma_f16 v98, v68, s3, -v98
	v_mul_f16_e32 v101, 0xbbf7, v70
	;; [unrolled: 3-line block ×4, first 2 shown]
	v_fma_f16 v112, v68, s12, v111
	v_fma_f16 v111, v68, s12, -v111
	v_fma_f16 v114, v68, s15, v113
	v_fma_f16 v113, v68, s15, -v113
	v_pack_b32_f16 v68, v68, v70
	v_mul_f16_e32 v70, 0xb836, v70
	v_fma_f16 v95, v67, s3, -v78
	v_fma_f16 v78, v67, s3, v78
	v_fma_f16 v102, v67, s1, -v101
	v_fma_f16 v101, v67, s1, v101
	;; [unrolled: 2-line block ×5, first 2 shown]
	v_pack_b32_f16 v67, v69, v67
	s_mov_b32 s16, 0xb1e1bbdd
	v_pk_mul_f16 v67, v67, s17
	v_pk_fma_f16 v69, v68, s16, v67 neg_lo:[1,0,0] neg_hi:[1,0,0]
	v_pk_fma_f16 v116, v68, s16, v67
	v_pk_fma_f16 v67, v68, s16, v67 neg_lo:[0,0,1] neg_hi:[0,0,1]
	v_add_f16_e32 v68, v71, v44
	v_add_f16_sdwa v71, v72, v44 dst_sel:DWORD dst_unused:UNUSED_PAD src0_sel:DWORD src1_sel:WORD_1
	v_add_f16_e32 v72, v74, v44
	v_add_f16_sdwa v74, v76, v44 dst_sel:DWORD dst_unused:UNUSED_PAD src0_sel:DWORD src1_sel:WORD_1
	;; [unrolled: 2-line block ×12, first 2 shown]
	v_pk_add_f16 v69, v69, v44 op_sel:[0,1] op_sel_hi:[1,0]
	v_pk_add_f16 v115, v116, v44 op_sel:[0,1] op_sel_hi:[1,0]
	v_pk_add_f16 v44, v67, v44 op_sel:[0,1] op_sel_hi:[1,0]
	v_fma_f16 v67, v62, s0, v73
	v_add_f16_e32 v67, v67, v68
	v_fma_f16 v68, v63, s0, -v75
	v_add_f16_e32 v68, v68, v71
	v_fma_f16 v71, v62, s1, v77
	v_add_f16_e32 v71, v71, v72
	v_fma_f16 v72, v63, s1, -v79
	v_mul_f16_e32 v73, 0xba62, v65
	v_add_f16_e32 v72, v72, v74
	v_fma_f16 v74, v62, s12, -v73
	v_mul_f16_e32 v75, 0xba62, v64
	v_fma_f16 v73, v62, s12, v73
	v_mul_f16_e32 v77, 0xb1e1, v65
	v_add_f16_e32 v74, v74, v76
	v_fma_f16 v76, v63, s12, v75
	v_add_f16_e32 v73, v73, v78
	v_fma_f16 v75, v63, s12, -v75
	v_fma_f16 v78, v62, s14, -v77
	v_mul_f16_e32 v79, 0xb1e1, v64
	v_fma_f16 v77, v62, s14, v77
	v_add_f16_e32 v76, v76, v95
	v_add_f16_e32 v75, v75, v98
	v_fma_f16 v95, v63, s14, v79
	v_add_f16_e32 v77, v77, v101
	v_fma_f16 v79, v63, s14, -v79
	v_mul_f16_e32 v98, 0x3836, v65
	v_mul_f16_e32 v101, 0x3836, v64
	v_add_f16_e32 v78, v78, v100
	v_add_f16_e32 v95, v95, v102
	;; [unrolled: 1-line block ×3, first 2 shown]
	v_fma_f16 v100, v62, s15, -v98
	v_fma_f16 v102, v63, s15, v101
	v_fma_f16 v98, v62, s15, v98
	v_fma_f16 v101, v63, s15, -v101
	v_mul_f16_e32 v103, 0x3bb2, v65
	v_add_f16_e32 v100, v100, v104
	v_add_f16_e32 v98, v98, v105
	;; [unrolled: 1-line block ×3, first 2 shown]
	v_fma_f16 v104, v62, s13, -v103
	v_mul_f16_e32 v105, 0x3bb2, v64
	v_fma_f16 v103, v62, s13, v103
	v_mul_f16_e32 v107, 0x3b29, v65
	v_add_f16_e32 v102, v102, v106
	v_add_f16_e32 v104, v104, v108
	v_fma_f16 v106, v63, s13, v105
	v_add_f16_e32 v103, v103, v109
	v_fma_f16 v108, v62, s3, -v107
	v_mul_f16_e32 v109, 0x3b29, v64
	v_fma_f16 v107, v62, s3, v107
	v_pack_b32_f16 v62, v64, v62
	s_mov_b32 s17, 0x3b7635c8
	v_add_f16_e32 v106, v106, v110
	v_fma_f16 v105, v63, s13, -v105
	v_fma_f16 v110, v63, s3, v109
	v_add_f16_e32 v70, v107, v70
	v_fma_f16 v107, v63, s3, -v109
	v_pack_b32_f16 v63, v63, v65
	s_mov_b32 s16, 0x35c83b76
	v_pk_mul_f16 v62, v62, s17
	v_pk_fma_f16 v64, v63, s16, v62 neg_lo:[1,0,0] neg_hi:[1,0,0]
	v_pk_fma_f16 v65, v63, s16, v62
	v_pk_fma_f16 v62, v63, s16, v62 neg_lo:[0,0,1] neg_hi:[0,0,1]
	v_pk_add_f16 v44, v62, v44
	v_fma_f16 v62, v43, s3, v80
	v_fma_f16 v63, v53, s3, -v81
	v_pk_add_f16 v64, v64, v69
	v_add_f16_e32 v62, v62, v67
	v_add_f16_e32 v63, v63, v68
	v_fma_f16 v67, v43, s12, v82
	v_fma_f16 v68, v53, s12, -v83
	v_mul_f16_e32 v69, 0x31e1, v55
	v_add_f16_e32 v67, v67, v71
	v_add_f16_e32 v68, v68, v72
	v_fma_f16 v71, v43, s14, -v69
	v_mul_f16_e32 v72, 0x31e1, v54
	v_fma_f16 v69, v43, s14, v69
	v_add_f16_e32 v71, v71, v74
	v_fma_f16 v74, v53, s14, v72
	v_add_f16_e32 v69, v69, v73
	v_fma_f16 v72, v53, s14, -v72
	v_mul_f16_e32 v73, 0x3bb2, v55
	v_add_f16_e32 v74, v74, v76
	v_add_f16_e32 v72, v72, v75
	v_fma_f16 v75, v43, s13, -v73
	v_mul_f16_e32 v76, 0x3bb2, v54
	v_fma_f16 v73, v43, s13, v73
	v_add_f16_e32 v75, v75, v78
	v_fma_f16 v78, v53, s13, v76
	v_add_f16_e32 v73, v73, v77
	v_fma_f16 v76, v53, s13, -v76
	v_mul_f16_e32 v77, 0x3964, v55
	v_add_f16_e32 v76, v76, v79
	v_fma_f16 v79, v43, s0, -v77
	v_mul_f16_e32 v80, 0x3964, v54
	v_add_f16_e32 v79, v79, v100
	v_fma_f16 v81, v53, s0, v80
	v_fma_f16 v80, v53, s0, -v80
	v_mul_f16_e32 v82, 0xb5c8, v55
	v_mul_f16_e32 v100, 0xbbf7, v55
	v_add_f16_e32 v78, v78, v95
	v_add_f16_e32 v81, v81, v102
	v_fma_f16 v77, v43, s0, v77
	v_add_f16_e32 v80, v80, v101
	v_fma_f16 v83, v43, s2, -v82
	v_mul_f16_e32 v95, 0xb5c8, v54
	v_fma_f16 v82, v43, s2, v82
	v_fma_f16 v101, v43, s1, -v100
	v_mul_f16_e32 v102, 0xbbf7, v54
	v_fma_f16 v100, v43, s1, v100
	v_pack_b32_f16 v43, v54, v43
	s_mov_b32 s17, 0xbacdb836
	v_add_f16_e32 v77, v77, v98
	v_fma_f16 v98, v53, s2, v95
	v_add_f16_e32 v82, v82, v103
	v_fma_f16 v95, v53, s2, -v95
	v_fma_f16 v103, v53, s1, v102
	v_add_f16_e32 v70, v100, v70
	v_fma_f16 v100, v53, s1, -v102
	v_pack_b32_f16 v53, v53, v55
	s_mov_b32 s16, 0xb836bacd
	v_pk_mul_f16 v43, v43, s17
	v_pk_fma_f16 v54, v53, s16, v43 neg_lo:[1,0,0] neg_hi:[1,0,0]
	v_pk_add_f16 v65, v65, v115
	v_pk_add_f16 v54, v54, v64
	v_pk_fma_f16 v55, v53, s16, v43
	v_pk_fma_f16 v43, v53, s16, v43 neg_lo:[0,0,1] neg_hi:[0,0,1]
	v_mul_f16_e32 v64, 0x3bb2, v52
	v_pk_add_f16 v55, v55, v65
	v_pk_add_f16 v43, v43, v44
	v_fma_f16 v44, v49, s1, v84
	v_fma_f16 v65, v49, s13, -v64
	v_fma_f16 v64, v49, s13, v64
	v_add_f16_e32 v44, v44, v62
	v_fma_f16 v53, v50, s1, -v85
	v_fma_f16 v62, v49, s14, v86
	v_add_f16_e32 v64, v64, v69
	v_mul_f16_e32 v69, 0x35c8, v52
	v_add_f16_e32 v53, v53, v63
	v_add_f16_e32 v62, v62, v67
	v_fma_f16 v63, v50, s14, -v87
	v_add_f16_e32 v65, v65, v71
	v_mul_f16_e32 v67, 0x3bb2, v51
	v_fma_f16 v71, v49, s2, -v69
	v_fma_f16 v69, v49, s2, v69
	v_add_f16_e32 v63, v63, v68
	v_fma_f16 v68, v50, s13, v67
	v_fma_f16 v67, v50, s13, -v67
	v_add_f16_e32 v69, v69, v73
	v_mul_f16_e32 v73, 0xbb29, v52
	v_add_f16_e32 v67, v67, v72
	v_add_f16_e32 v71, v71, v75
	v_mul_f16_e32 v72, 0x35c8, v51
	v_fma_f16 v75, v49, s3, -v73
	v_fma_f16 v73, v49, s3, v73
	v_add_f16_e32 v68, v68, v74
	v_fma_f16 v74, v50, s2, v72
	v_fma_f16 v72, v50, s2, -v72
	v_add_f16_e32 v73, v73, v77
	v_mul_f16_e32 v77, 0xb836, v52
	v_add_f16_e32 v72, v72, v76
	v_add_f16_e32 v75, v75, v79
	v_mul_f16_e32 v76, 0xbb29, v51
	v_fma_f16 v79, v49, s15, -v77
	v_fma_f16 v77, v49, s15, v77
	v_add_f16_e32 v83, v83, v104
	v_add_f16_e32 v74, v74, v78
	v_fma_f16 v78, v50, s3, v76
	v_fma_f16 v76, v50, s3, -v76
	v_add_f16_e32 v77, v77, v82
	v_mul_f16_e32 v82, 0x3a62, v52
	v_add_f16_e32 v76, v76, v80
	v_add_f16_e32 v79, v79, v83
	v_mul_f16_e32 v80, 0xb836, v51
	v_fma_f16 v83, v49, s12, -v82
	v_mul_f16_e32 v84, 0x3a62, v51
	v_fma_f16 v82, v49, s12, v82
	v_pack_b32_f16 v49, v51, v49
	s_mov_b32 s17, 0x39e93964
	v_add_f16_e32 v78, v78, v81
	v_fma_f16 v81, v50, s15, v80
	v_fma_f16 v80, v50, s15, -v80
	v_fma_f16 v85, v50, s12, v84
	v_add_f16_e32 v70, v82, v70
	v_fma_f16 v82, v50, s12, -v84
	v_pack_b32_f16 v50, v50, v52
	s_mov_b32 s16, 0x396439e9
	v_pk_mul_f16 v49, v49, s17
	v_pk_fma_f16 v51, v50, s16, v49 neg_lo:[1,0,0] neg_hi:[1,0,0]
	v_pk_fma_f16 v52, v50, s16, v49
	v_pk_fma_f16 v49, v50, s16, v49 neg_lo:[0,0,1] neg_hi:[0,0,1]
	v_pk_add_f16 v43, v49, v43
	v_fma_f16 v49, v39, s13, v88
	v_pk_add_f16 v51, v51, v54
	v_add_f16_e32 v44, v49, v44
	v_fma_f16 v49, v40, s13, -v89
	v_fma_f16 v50, v39, s15, v90
	v_mul_f16_e32 v54, 0x3964, v42
	v_pk_add_f16 v52, v52, v55
	v_add_f16_e32 v49, v49, v53
	v_add_f16_e32 v50, v50, v62
	v_fma_f16 v53, v40, s15, -v91
	v_fma_f16 v55, v39, s0, -v54
	v_mul_f16_e32 v62, 0x3964, v41
	v_fma_f16 v54, v39, s0, v54
	v_add_f16_e32 v53, v53, v63
	v_fma_f16 v63, v40, s0, v62
	v_add_f16_e32 v54, v54, v64
	v_fma_f16 v62, v40, s0, -v62
	v_mul_f16_e32 v64, 0xbb29, v42
	v_add_f16_e32 v55, v55, v65
	v_add_f16_e32 v62, v62, v67
	v_fma_f16 v65, v39, s3, -v64
	v_mul_f16_e32 v67, 0xbb29, v41
	v_fma_f16 v64, v39, s3, v64
	v_add_f16_e32 v63, v63, v68
	v_fma_f16 v68, v40, s3, v67
	v_add_f16_e32 v64, v64, v69
	v_fma_f16 v67, v40, s3, -v67
	v_mul_f16_e32 v69, 0xb1e1, v42
	v_add_f16_e32 v65, v65, v71
	v_add_f16_e32 v67, v67, v72
	v_fma_f16 v71, v39, s14, -v69
	v_mul_f16_e32 v72, 0xb1e1, v41
	v_fma_f16 v69, v39, s14, v69
	v_add_f16_e32 v105, v105, v111
	v_add_f16_e32 v68, v68, v74
	v_fma_f16 v74, v40, s14, v72
	v_add_f16_e32 v69, v69, v73
	v_fma_f16 v72, v40, s14, -v72
	v_mul_f16_e32 v73, 0x3bf7, v42
	v_add_f16_e32 v95, v95, v105
	v_add_f16_e32 v71, v71, v75
	;; [unrolled: 1-line block ×3, first 2 shown]
	v_fma_f16 v75, v39, s1, -v73
	v_mul_f16_e32 v76, 0x3bf7, v41
	v_fma_f16 v73, v39, s1, v73
	v_add_f16_e32 v98, v98, v106
	v_add_f16_e32 v80, v80, v95
	;; [unrolled: 1-line block ×3, first 2 shown]
	v_fma_f16 v78, v40, s1, v76
	v_add_f16_e32 v73, v73, v77
	v_fma_f16 v76, v40, s1, -v76
	v_mul_f16_e32 v77, 0xb5c8, v42
	v_add_f16_e32 v81, v81, v98
	v_add_f16_e32 v75, v75, v79
	;; [unrolled: 1-line block ×3, first 2 shown]
	v_fma_f16 v79, v39, s2, -v77
	v_mul_f16_e32 v80, 0xb5c8, v41
	v_fma_f16 v77, v39, s2, v77
	v_pack_b32_f16 v39, v41, v39
	s_mov_b32 s17, 0xb8d2ba62
	v_add_f16_e32 v78, v78, v81
	v_fma_f16 v81, v40, s2, v80
	v_add_f16_e32 v70, v77, v70
	v_fma_f16 v77, v40, s2, -v80
	v_pack_b32_f16 v40, v40, v42
	s_mov_b32 s16, 0xba62b8d2
	v_pk_mul_f16 v39, v39, s17
	v_pk_fma_f16 v41, v40, s16, v39 neg_lo:[1,0,0] neg_hi:[1,0,0]
	v_pk_fma_f16 v42, v40, s16, v39
	v_pk_fma_f16 v39, v40, s16, v39 neg_lo:[0,0,1] neg_hi:[0,0,1]
	v_fma_f16 v40, v45, s12, v66
	v_add_f16_e32 v40, v40, v44
	v_fma_f16 v44, v45, s13, v93
	v_pk_add_f16 v39, v39, v43
	v_fma_f16 v43, v46, s12, -v92
	v_add_f16_e32 v44, v44, v50
	v_mul_f16_e32 v50, 0xb5c8, v48
	v_pk_add_f16 v41, v41, v51
	v_pk_add_f16 v42, v42, v52
	v_add_f16_e32 v43, v43, v49
	v_fma_f16 v49, v46, s13, -v94
	v_fma_f16 v51, v45, s2, -v50
	v_mul_f16_e32 v52, 0xb5c8, v47
	v_fma_f16 v50, v45, s2, v50
	v_add_f16_e32 v49, v49, v53
	v_fma_f16 v53, v46, s2, v52
	v_add_f16_e32 v50, v50, v54
	v_fma_f16 v52, v46, s2, -v52
	v_mul_f16_e32 v54, 0xb836, v48
	v_add_f16_e32 v51, v51, v55
	v_add_f16_e32 v52, v52, v62
	v_fma_f16 v55, v45, s15, -v54
	v_mul_f16_e32 v62, 0xb836, v47
	v_fma_f16 v54, v45, s15, v54
	v_add_f16_e32 v53, v53, v63
	v_fma_f16 v63, v46, s15, v62
	v_add_f16_e32 v54, v54, v64
	v_mul_f16_e32 v64, 0x3bf7, v48
	v_add_f16_e32 v55, v55, v65
	v_add_f16_e32 v63, v63, v68
	v_fma_f16 v65, v45, s1, -v64
	v_fma_f16 v64, v45, s1, v64
	v_mul_f16_e32 v68, 0xb964, v48
	v_fma_f16 v62, v46, s15, -v62
	v_mul_f16_e32 v66, 0x3bf7, v47
	v_add_f16_e32 v64, v64, v69
	v_fma_f16 v69, v45, s0, -v68
	v_fma_f16 v68, v45, s0, v68
	v_add_f16_e32 v62, v62, v67
	v_add_f16_e32 v65, v65, v71
	v_fma_f16 v67, v46, s1, v66
	v_fma_f16 v66, v46, s1, -v66
	v_mul_f16_e32 v71, 0xb964, v47
	v_add_f16_e32 v68, v68, v73
	v_mul_f16_e32 v73, 0xb1e1, v48
	v_add_f16_e32 v67, v67, v74
	v_add_f16_e32 v66, v66, v72
	;; [unrolled: 1-line block ×3, first 2 shown]
	v_fma_f16 v72, v46, s0, v71
	v_fma_f16 v71, v46, s0, -v71
	v_fma_f16 v74, v45, s14, -v73
	v_mul_f16_e32 v75, 0xb1e1, v47
	v_fma_f16 v73, v45, s14, v73
	v_pack_b32_f16 v45, v47, v45
	s_mov_b32 s17, 0x37223b29
	v_add_f16_e32 v71, v71, v76
	v_fma_f16 v76, v46, s14, v75
	v_add_f16_e32 v70, v73, v70
	v_fma_f16 v73, v46, s14, -v75
	v_pack_b32_f16 v46, v46, v48
	s_mov_b32 s16, 0x3b293722
	v_pk_mul_f16 v45, v45, s17
	v_pk_fma_f16 v47, v46, s16, v45 neg_lo:[1,0,0] neg_hi:[1,0,0]
	v_pk_add_f16 v41, v47, v41
	v_pk_fma_f16 v47, v46, s16, v45
	v_pk_fma_f16 v45, v46, s16, v45 neg_lo:[0,0,1] neg_hi:[0,0,1]
	v_pk_add_f16 v39, v45, v39
	v_fma_f16 v45, v34, s15, v58
	v_add_f16_e32 v40, v45, v40
	v_fma_f16 v45, v35, s15, -v96
	v_add_f16_e32 v43, v45, v43
	v_fma_f16 v45, v34, s3, v97
	v_mul_f16_e32 v46, 0xbbf7, v37
	v_pk_add_f16 v42, v47, v42
	v_add_f16_e32 v44, v45, v44
	v_fma_f16 v45, v35, s3, -v99
	v_fma_f16 v47, v34, s1, -v46
	v_mul_f16_e32 v48, 0xbbf7, v36
	v_fma_f16 v46, v34, s1, v46
	v_add_f16_e32 v45, v45, v49
	v_fma_f16 v49, v35, s1, v48
	v_add_f16_e32 v46, v46, v50
	v_fma_f16 v48, v35, s1, -v48
	v_mul_f16_e32 v50, 0x3a62, v37
	v_add_f16_e32 v47, v47, v51
	v_add_f16_e32 v48, v48, v52
	v_fma_f16 v51, v34, s12, -v50
	v_mul_f16_e32 v52, 0x3a62, v36
	v_fma_f16 v50, v34, s12, v50
	v_add_f16_e32 v49, v49, v53
	v_fma_f16 v53, v35, s12, v52
	v_add_f16_e32 v50, v50, v54
	v_fma_f16 v52, v35, s12, -v52
	v_mul_f16_e32 v54, 0xb5c8, v37
	v_mul_f16_e32 v58, 0xb5c8, v36
	v_add_f16_e32 v51, v51, v55
	v_add_f16_e32 v53, v53, v63
	;; [unrolled: 1-line block ×3, first 2 shown]
	v_fma_f16 v55, v34, s2, -v54
	v_fma_f16 v62, v35, s2, v58
	v_fma_f16 v54, v34, s2, v54
	v_mul_f16_e32 v63, 0xb1e1, v37
	v_add_f16_e32 v55, v55, v65
	v_add_f16_e32 v62, v62, v67
	;; [unrolled: 1-line block ×3, first 2 shown]
	v_fma_f16 v58, v35, s2, -v58
	v_fma_f16 v64, v34, s14, -v63
	v_mul_f16_e32 v65, 0xb1e1, v36
	v_fma_f16 v63, v34, s14, v63
	v_mul_f16_e32 v67, 0x3964, v37
	v_add_f16_e32 v58, v58, v66
	v_add_f16_e32 v64, v64, v69
	v_fma_f16 v66, v35, s14, v65
	v_add_f16_e32 v63, v63, v68
	v_fma_f16 v65, v35, s14, -v65
	v_fma_f16 v68, v34, s0, -v67
	v_mul_f16_e32 v69, 0x3964, v36
	v_fma_f16 v67, v34, s0, v67
	v_pack_b32_f16 v34, v36, v34
	s_mov_b32 s17, 0xb461bbb2
	v_add_f16_e32 v65, v65, v71
	v_fma_f16 v71, v35, s0, v69
	v_fma_f16 v69, v35, s0, -v69
	v_pack_b32_f16 v35, v35, v37
	s_mov_b32 s16, 0xbbb2b461
	v_pk_mul_f16 v34, v34, s17
	v_pk_fma_f16 v36, v35, s16, v34 neg_lo:[1,0,0] neg_hi:[1,0,0]
	v_pk_fma_f16 v37, v35, s16, v34
	v_pk_fma_f16 v34, v35, s16, v34 neg_lo:[0,0,1] neg_hi:[0,0,1]
	v_pk_add_f16 v37, v37, v42
	v_pk_add_f16 v34, v34, v39
	v_fma_f16 v35, v22, s14, v56
	v_fma_f16 v39, v32, s14, -v59
	v_mul_f16_e32 v42, 0xb836, v38
	v_add_f16_e32 v35, v35, v40
	v_add_f16_e32 v39, v39, v43
	v_fma_f16 v40, v22, s2, v60
	v_fma_f16 v43, v22, s15, -v42
	v_fma_f16 v42, v22, s15, v42
	v_pk_add_f16 v36, v36, v41
	v_add_f16_e32 v40, v40, v44
	v_fma_f16 v41, v32, s2, -v61
	v_mul_f16_e32 v44, 0xb836, v33
	v_add_f16_e32 v42, v42, v46
	v_mul_f16_e32 v46, 0x3964, v38
	v_add_f16_e32 v41, v41, v45
	v_add_f16_e32 v43, v43, v47
	v_fma_f16 v45, v32, s15, v44
	v_fma_f16 v44, v32, s15, -v44
	v_fma_f16 v47, v22, s0, -v46
	v_fma_f16 v46, v22, s0, v46
	v_add_f16_e32 v44, v44, v48
	v_mul_f16_e32 v48, 0x3964, v33
	v_add_f16_e32 v46, v46, v50
	v_mul_f16_e32 v50, 0xba62, v38
	v_add_f16_e32 v45, v45, v49
	v_add_f16_e32 v47, v47, v51
	v_fma_f16 v49, v32, s0, v48
	v_fma_f16 v48, v32, s0, -v48
	v_fma_f16 v51, v22, s12, -v50
	v_fma_f16 v50, v22, s12, v50
	v_add_f16_e32 v108, v108, v112
	v_add_f16_e32 v110, v110, v114
	v_add_f16_e32 v48, v48, v52
	v_mul_f16_e32 v52, 0xba62, v33
	v_add_f16_e32 v50, v50, v54
	v_mul_f16_e32 v54, 0x3b29, v38
	v_mul_f16_e32 v59, 0xbbb2, v38
	v_add_f16_e32 v101, v101, v108
	v_add_f16_e32 v103, v103, v110
	;; [unrolled: 1-line block ×4, first 2 shown]
	v_fma_f16 v53, v32, s12, v52
	v_fma_f16 v52, v32, s12, -v52
	v_fma_f16 v55, v22, s3, -v54
	v_mul_f16_e32 v56, 0x3b29, v33
	v_fma_f16 v54, v22, s3, v54
	v_fma_f16 v60, v22, s13, -v59
	v_mul_f16_e32 v61, 0xbbb2, v33
	v_fma_f16 v59, v22, s13, v59
	v_pack_b32_f16 v22, v33, v22
	s_mov_b32 s17, 0x2de83bf7
	v_add_f16_e32 v107, v107, v113
	v_add_f16_e32 v83, v83, v101
	;; [unrolled: 1-line block ×5, first 2 shown]
	v_fma_f16 v58, v32, s3, v56
	v_fma_f16 v56, v32, s3, -v56
	v_fma_f16 v62, v32, s13, v61
	v_fma_f16 v61, v32, s13, -v61
	v_pack_b32_f16 v32, v32, v38
	s_mov_b32 s16, 0x3bf72de8
	v_pk_mul_f16 v22, v22, s17
	v_add_f16_e32 v100, v100, v107
	v_add_f16_e32 v79, v79, v83
	;; [unrolled: 1-line block ×4, first 2 shown]
	v_pk_fma_f16 v33, v32, s16, v22 neg_lo:[1,0,0] neg_hi:[1,0,0]
	v_add_f16_e32 v82, v82, v100
	v_add_f16_e32 v74, v74, v79
	v_add_f16_e32 v76, v76, v81
	v_add_f16_e32 v66, v66, v72
	v_pk_add_f16 v33, v33, v36
	v_pk_fma_f16 v36, v32, s16, v22
	v_pk_fma_f16 v22, v32, s16, v22 neg_lo:[0,0,1] neg_hi:[0,0,1]
	v_add_f16_e32 v77, v77, v82
	v_add_f16_e32 v68, v68, v74
	;; [unrolled: 1-line block ×5, first 2 shown]
	v_pk_add_f16 v22, v22, v34
	v_pack_b32_f16 v32, v47, v49
	v_pack_b32_f16 v34, v43, v45
	v_add_f16_e32 v73, v73, v77
	v_add_f16_e32 v60, v60, v68
	v_add_f16_e32 v62, v62, v71
	ds_write2_b32 v23, v34, v32 offset0:3 offset1:4
	v_pack_b32_f16 v32, v55, v58
	v_pack_b32_f16 v34, v51, v53
	v_add_f16_e32 v67, v67, v70
	v_add_f16_e32 v69, v69, v73
	v_pk_add_f16 v36, v36, v37
	ds_write2_b32 v23, v34, v32 offset0:5 offset1:6
	v_pack_b32_f16 v32, v60, v62
	v_add_f16_e32 v54, v54, v63
	v_add_f16_e32 v56, v56, v65
	;; [unrolled: 1-line block ×4, first 2 shown]
	ds_write2_b32 v23, v57, v32 offset1:7
	v_alignbit_b32 v22, v22, v36, 16
	v_alignbit_b32 v32, v36, v33, 16
	ds_write2_b32 v23, v32, v22 offset0:8 offset1:9
	v_pack_b32_f16 v22, v54, v56
	v_pack_b32_f16 v32, v59, v61
	ds_write2_b32 v23, v32, v22 offset0:10 offset1:11
	v_pack_b32_f16 v22, v46, v48
	v_pack_b32_f16 v32, v50, v52
	;; [unrolled: 3-line block ×3, first 2 shown]
	ds_write2_b32 v23, v32, v22 offset0:14 offset1:15
	v_pack_b32_f16 v22, v35, v39
	ds_write_b32 v23, v22 offset:64
	s_waitcnt lgkmcnt(0)
	s_barrier
	global_load_dwordx4 v[32:35], v21, s[6:7] offset:80
	global_load_dwordx4 v[36:39], v21, s[6:7] offset:96
	ds_read2_b32 v[44:45], v23 offset1:1
	global_load_dwordx4 v[40:43], v21, s[6:7] offset:112
	ds_read2_b32 v[46:47], v23 offset0:2 offset1:3
	ds_read2_b32 v[48:49], v23 offset0:4 offset1:5
	;; [unrolled: 1-line block ×3, first 2 shown]
	s_mov_b32 s16, 0xbbb2
	s_movk_i32 s17, 0x3bb2
	s_waitcnt lgkmcnt(3)
	v_lshrrev_b32_e32 v22, 16, v44
	v_mul_f16_sdwa v53, v22, v1 dst_sel:DWORD dst_unused:UNUSED_PAD src0_sel:DWORD src1_sel:WORD_1
	v_lshrrev_b32_e32 v52, 16, v45
	v_fma_f16 v53, v44, v1, -v53
	v_mul_f16_sdwa v44, v44, v1 dst_sel:DWORD dst_unused:UNUSED_PAD src0_sel:DWORD src1_sel:WORD_1
	v_fma_f16 v1, v22, v1, v44
	v_mul_f16_sdwa v22, v52, v2 dst_sel:DWORD dst_unused:UNUSED_PAD src0_sel:DWORD src1_sel:WORD_1
	v_mul_f16_sdwa v44, v45, v2 dst_sel:DWORD dst_unused:UNUSED_PAD src0_sel:DWORD src1_sel:WORD_1
	v_fma_f16 v22, v45, v2, -v22
	v_fma_f16 v2, v52, v2, v44
	v_pack_b32_f16 v2, v22, v2
	v_pack_b32_f16 v1, v53, v1
	ds_write2_b32 v23, v1, v2 offset1:1
	s_waitcnt lgkmcnt(3)
	v_lshrrev_b32_e32 v1, 16, v46
	v_mul_f16_sdwa v2, v1, v3 dst_sel:DWORD dst_unused:UNUSED_PAD src0_sel:DWORD src1_sel:WORD_1
	v_lshrrev_b32_e32 v22, 16, v47
	v_fma_f16 v44, v46, v3, -v2
	v_mul_f16_sdwa v2, v46, v3 dst_sel:DWORD dst_unused:UNUSED_PAD src0_sel:DWORD src1_sel:WORD_1
	v_fma_f16 v3, v1, v3, v2
	v_pack_b32_f16 v3, v44, v3
	s_waitcnt vmcnt(2)
	v_mul_f16_sdwa v1, v22, v32 dst_sel:DWORD dst_unused:UNUSED_PAD src0_sel:DWORD src1_sel:WORD_1
	v_fma_f16 v45, v47, v32, -v1
	global_load_dwordx2 v[1:2], v21, s[6:7] offset:128
	v_mul_f16_sdwa v46, v47, v32 dst_sel:DWORD dst_unused:UNUSED_PAD src0_sel:DWORD src1_sel:WORD_1
	v_fma_f16 v21, v22, v32, v46
	v_pack_b32_f16 v21, v45, v21
	ds_write2_b32 v23, v3, v21 offset0:2 offset1:3
	s_waitcnt lgkmcnt(3)
	v_lshrrev_b32_e32 v3, 16, v48
	v_lshrrev_b32_e32 v21, 16, v49
	v_mul_f16_sdwa v22, v3, v33 dst_sel:DWORD dst_unused:UNUSED_PAD src0_sel:DWORD src1_sel:WORD_1
	v_mul_f16_sdwa v32, v48, v33 dst_sel:DWORD dst_unused:UNUSED_PAD src0_sel:DWORD src1_sel:WORD_1
	v_fma_f16 v22, v48, v33, -v22
	v_fma_f16 v3, v3, v33, v32
	v_mul_f16_sdwa v32, v21, v34 dst_sel:DWORD dst_unused:UNUSED_PAD src0_sel:DWORD src1_sel:WORD_1
	v_mul_f16_sdwa v33, v49, v34 dst_sel:DWORD dst_unused:UNUSED_PAD src0_sel:DWORD src1_sel:WORD_1
	v_fma_f16 v32, v49, v34, -v32
	v_fma_f16 v21, v21, v34, v33
	v_pack_b32_f16 v21, v32, v21
	v_pack_b32_f16 v3, v22, v3
	ds_write2_b32 v23, v3, v21 offset0:4 offset1:5
	s_waitcnt lgkmcnt(3)
	v_lshrrev_b32_e32 v3, 16, v50
	v_lshrrev_b32_e32 v21, 16, v51
	v_mul_f16_sdwa v32, v50, v35 dst_sel:DWORD dst_unused:UNUSED_PAD src0_sel:DWORD src1_sel:WORD_1
	v_mul_f16_sdwa v22, v3, v35 dst_sel:DWORD dst_unused:UNUSED_PAD src0_sel:DWORD src1_sel:WORD_1
	v_fma_f16 v3, v3, v35, v32
	s_waitcnt vmcnt(2)
	v_mul_f16_sdwa v32, v21, v36 dst_sel:DWORD dst_unused:UNUSED_PAD src0_sel:DWORD src1_sel:WORD_1
	v_mul_f16_sdwa v33, v51, v36 dst_sel:DWORD dst_unused:UNUSED_PAD src0_sel:DWORD src1_sel:WORD_1
	v_fma_f16 v22, v50, v35, -v22
	v_fma_f16 v32, v51, v36, -v32
	v_fma_f16 v21, v21, v36, v33
	v_pack_b32_f16 v32, v32, v21
	v_pack_b32_f16 v3, v22, v3
	ds_read2_b32 v[21:22], v23 offset0:8 offset1:9
	ds_write2_b32 v23, v3, v32 offset0:6 offset1:7
	ds_read2_b32 v[32:33], v23 offset0:10 offset1:11
	ds_read2_b32 v[34:35], v23 offset0:12 offset1:13
	;; [unrolled: 1-line block ×3, first 2 shown]
	s_movk_i32 s6, 0x3bf7
	s_mov_b32 s7, 0xb1e1
	s_waitcnt lgkmcnt(4)
	v_lshrrev_b32_e32 v3, 16, v21
	v_mul_f16_sdwa v46, v3, v37 dst_sel:DWORD dst_unused:UNUSED_PAD src0_sel:DWORD src1_sel:WORD_1
	v_lshrrev_b32_e32 v36, 16, v22
	v_fma_f16 v46, v21, v37, -v46
	v_mul_f16_sdwa v21, v21, v37 dst_sel:DWORD dst_unused:UNUSED_PAD src0_sel:DWORD src1_sel:WORD_1
	v_fma_f16 v3, v3, v37, v21
	v_mul_f16_sdwa v21, v36, v38 dst_sel:DWORD dst_unused:UNUSED_PAD src0_sel:DWORD src1_sel:WORD_1
	v_fma_f16 v21, v22, v38, -v21
	v_mul_f16_sdwa v22, v22, v38 dst_sel:DWORD dst_unused:UNUSED_PAD src0_sel:DWORD src1_sel:WORD_1
	v_fma_f16 v22, v36, v38, v22
	v_pack_b32_f16 v21, v21, v22
	v_pack_b32_f16 v3, v46, v3
	ds_write2_b32 v23, v3, v21 offset0:8 offset1:9
	s_waitcnt lgkmcnt(3)
	v_lshrrev_b32_e32 v3, 16, v32
	v_mul_f16_sdwa v22, v3, v39 dst_sel:DWORD dst_unused:UNUSED_PAD src0_sel:DWORD src1_sel:WORD_1
	v_lshrrev_b32_e32 v21, 16, v33
	v_fma_f16 v22, v32, v39, -v22
	v_mul_f16_sdwa v32, v32, v39 dst_sel:DWORD dst_unused:UNUSED_PAD src0_sel:DWORD src1_sel:WORD_1
	v_fma_f16 v3, v3, v39, v32
	s_waitcnt vmcnt(1)
	v_mul_f16_sdwa v32, v21, v40 dst_sel:DWORD dst_unused:UNUSED_PAD src0_sel:DWORD src1_sel:WORD_1
	v_fma_f16 v32, v33, v40, -v32
	v_mul_f16_sdwa v33, v33, v40 dst_sel:DWORD dst_unused:UNUSED_PAD src0_sel:DWORD src1_sel:WORD_1
	v_fma_f16 v21, v21, v40, v33
	v_pack_b32_f16 v21, v32, v21
	v_pack_b32_f16 v3, v22, v3
	ds_write2_b32 v23, v3, v21 offset0:10 offset1:11
	s_waitcnt lgkmcnt(3)
	v_lshrrev_b32_e32 v3, 16, v34
	v_lshrrev_b32_e32 v21, 16, v35
	v_mul_f16_sdwa v32, v34, v41 dst_sel:DWORD dst_unused:UNUSED_PAD src0_sel:DWORD src1_sel:WORD_1
	v_mul_f16_sdwa v22, v3, v41 dst_sel:DWORD dst_unused:UNUSED_PAD src0_sel:DWORD src1_sel:WORD_1
	v_fma_f16 v3, v3, v41, v32
	v_mul_f16_sdwa v32, v21, v42 dst_sel:DWORD dst_unused:UNUSED_PAD src0_sel:DWORD src1_sel:WORD_1
	v_mul_f16_sdwa v33, v35, v42 dst_sel:DWORD dst_unused:UNUSED_PAD src0_sel:DWORD src1_sel:WORD_1
	v_fma_f16 v22, v34, v41, -v22
	v_fma_f16 v32, v35, v42, -v32
	v_fma_f16 v21, v21, v42, v33
	v_pack_b32_f16 v21, v32, v21
	v_pack_b32_f16 v3, v22, v3
	ds_read_b32 v34, v23 offset:64
	ds_write2_b32 v23, v3, v21 offset0:12 offset1:13
	s_waitcnt lgkmcnt(4)
	v_lshrrev_b32_e32 v3, 16, v44
	v_lshrrev_b32_e32 v21, 16, v45
	v_mul_f16_sdwa v32, v44, v43 dst_sel:DWORD dst_unused:UNUSED_PAD src0_sel:DWORD src1_sel:WORD_1
	v_mul_f16_sdwa v22, v3, v43 dst_sel:DWORD dst_unused:UNUSED_PAD src0_sel:DWORD src1_sel:WORD_1
	v_fma_f16 v3, v3, v43, v32
	s_waitcnt vmcnt(0)
	v_mul_f16_sdwa v32, v21, v1 dst_sel:DWORD dst_unused:UNUSED_PAD src0_sel:DWORD src1_sel:WORD_1
	v_mul_f16_sdwa v33, v45, v1 dst_sel:DWORD dst_unused:UNUSED_PAD src0_sel:DWORD src1_sel:WORD_1
	v_fma_f16 v22, v44, v43, -v22
	v_fma_f16 v32, v45, v1, -v32
	v_fma_f16 v1, v21, v1, v33
	v_pack_b32_f16 v1, v32, v1
	v_pack_b32_f16 v3, v22, v3
	ds_write2_b32 v23, v3, v1 offset0:14 offset1:15
	s_waitcnt lgkmcnt(2)
	v_lshrrev_b32_e32 v1, 16, v34
	v_mul_f16_sdwa v3, v1, v2 dst_sel:DWORD dst_unused:UNUSED_PAD src0_sel:DWORD src1_sel:WORD_1
	v_mul_f16_sdwa v21, v34, v2 dst_sel:DWORD dst_unused:UNUSED_PAD src0_sel:DWORD src1_sel:WORD_1
	v_fma_f16 v3, v34, v2, -v3
	v_fma_f16 v1, v1, v2, v21
	v_pack_b32_f16 v1, v3, v1
	ds_write_b32 v23, v1 offset:64
	s_waitcnt lgkmcnt(0)
	s_barrier
	ds_read_b32 v3, v23 offset:64
	ds_read2_b32 v[32:33], v23 offset0:1 offset1:2
	ds_read2_b32 v[34:35], v23 offset0:3 offset1:4
	ds_read2_b32 v[36:37], v23 offset0:5 offset1:6
	ds_read2_b32 v[1:2], v23 offset0:8 offset1:9
	ds_read2_b32 v[38:39], v23 offset0:14 offset1:15
	s_waitcnt lgkmcnt(4)
	v_alignbit_b32 v21, v32, v32, 16
	v_pk_add_f16 v22, v3, v21 op_sel:[1,0] op_sel_hi:[0,1]
	v_pk_add_f16 v21, v21, v3 op_sel:[0,1] op_sel_hi:[1,0] neg_lo:[0,1] neg_hi:[0,1]
	v_lshrrev_b32_e32 v40, 16, v22
	v_mul_f16_e32 v41, 0xb5c8, v21
	v_fma_f16 v46, v40, s2, v41
	v_fma_f16 v48, v40, s2, -v41
	v_mul_f16_e32 v41, 0xb964, v21
	v_fma_f16 v50, v40, s0, v41
	v_fma_f16 v51, v40, s0, -v41
	;; [unrolled: 3-line block ×6, first 2 shown]
	v_mul_f16_e32 v41, 0xb836, v21
	v_lshrrev_b32_e32 v43, 16, v21
	v_fma_f16 v60, v40, s15, v41
	v_fma_f16 v61, v40, s15, -v41
	v_mul_f16_e32 v40, 0x39e9, v22
	v_fma_f16 v62, v43, s23, v40
	v_fma_f16 v63, v43, s21, v40
	v_mul_f16_e32 v40, 0x3722, v22
	v_fma_f16 v64, v43, s19, v40
	v_fma_f16 v65, v43, s18, v40
	;; [unrolled: 3-line block ×6, first 2 shown]
	ds_read2_b32 v[40:41], v23 offset1:7
	v_pk_mul_f16 v21, v21, s7 op_sel_hi:[1,0]
	v_pk_fma_f16 v74, v22, s14, v21 op_sel:[0,0,1] op_sel_hi:[1,0,0]
	v_pk_fma_f16 v75, v22, s14, v21 op_sel:[0,0,1] op_sel_hi:[1,0,0] neg_lo:[0,0,1] neg_hi:[0,0,1]
	v_mul_f16_e32 v42, 0x3b76, v22
	s_waitcnt lgkmcnt(0)
	v_add_f16_e32 v21, v32, v40
	v_add_f16_e32 v76, v21, v33
	v_add_f16_sdwa v21, v32, v40 dst_sel:DWORD dst_unused:UNUSED_PAD src0_sel:WORD_1 src1_sel:WORD_1
	v_add_f16_sdwa v32, v21, v33 dst_sel:DWORD dst_unused:UNUSED_PAD src0_sel:DWORD src1_sel:WORD_1
	v_pk_add_f16 v22, v39, v33
	v_pk_add_f16 v21, v33, v39 neg_lo:[0,1] neg_hi:[0,1]
	v_add_f16_e32 v33, v76, v34
	v_add_f16_sdwa v32, v32, v34 dst_sel:DWORD dst_unused:UNUSED_PAD src0_sel:DWORD src1_sel:WORD_1
	v_add_f16_e32 v33, v33, v35
	v_add_f16_sdwa v32, v32, v35 dst_sel:DWORD dst_unused:UNUSED_PAD src0_sel:DWORD src1_sel:WORD_1
	;; [unrolled: 2-line block ×3, first 2 shown]
	v_fma_f16 v47, v43, s27, v42
	v_fma_f16 v49, v43, s26, v42
	ds_read2_b32 v[42:43], v23 offset0:10 offset1:11
	ds_read2_b32 v[44:45], v23 offset0:12 offset1:13
	v_add_f16_e32 v33, v33, v37
	v_add_f16_sdwa v32, v32, v37 dst_sel:DWORD dst_unused:UNUSED_PAD src0_sel:DWORD src1_sel:WORD_1
	v_add_f16_e32 v33, v33, v41
	v_add_f16_sdwa v32, v32, v41 dst_sel:DWORD dst_unused:UNUSED_PAD src0_sel:DWORD src1_sel:WORD_1
	;; [unrolled: 2-line block ×4, first 2 shown]
	s_waitcnt lgkmcnt(1)
	v_add_f16_e32 v33, v33, v42
	v_add_f16_sdwa v32, v32, v42 dst_sel:DWORD dst_unused:UNUSED_PAD src0_sel:DWORD src1_sel:WORD_1
	v_add_f16_e32 v33, v33, v43
	v_add_f16_sdwa v32, v32, v43 dst_sel:DWORD dst_unused:UNUSED_PAD src0_sel:DWORD src1_sel:WORD_1
	s_waitcnt lgkmcnt(0)
	v_add_f16_e32 v33, v33, v44
	v_add_f16_sdwa v32, v32, v44 dst_sel:DWORD dst_unused:UNUSED_PAD src0_sel:DWORD src1_sel:WORD_1
	v_add_f16_e32 v33, v33, v45
	v_add_f16_sdwa v32, v32, v45 dst_sel:DWORD dst_unused:UNUSED_PAD src0_sel:DWORD src1_sel:WORD_1
	;; [unrolled: 2-line block ×4, first 2 shown]
	v_add_f16_e32 v33, v33, v3
	v_add_f16_sdwa v3, v32, v3 dst_sel:WORD_1 dst_unused:UNUSED_PAD src0_sel:DWORD src1_sel:WORD_1
	v_mul_f16_sdwa v32, v21, s21 dst_sel:DWORD dst_unused:UNUSED_PAD src0_sel:WORD_1 src1_sel:DWORD
	v_pk_add_f16 v39, v38, v34
	v_pk_add_f16 v34, v34, v38 neg_lo:[0,1] neg_hi:[0,1]
	v_pk_add_f16 v38, v45, v35
	v_pk_add_f16 v35, v35, v45 neg_lo:[0,1] neg_hi:[0,1]
	;; [unrolled: 2-line block ×5, first 2 shown]
	v_add_f16_e32 v42, v46, v40
	v_or_b32_e32 v3, v3, v33
	v_fma_f16 v33, v22, s0, v32
	v_add_f16_sdwa v46, v47, v40 dst_sel:DWORD dst_unused:UNUSED_PAD src0_sel:DWORD src1_sel:WORD_1
	v_add_f16_e32 v47, v48, v40
	v_add_f16_e32 v33, v33, v42
	v_mul_f16_sdwa v42, v22, s0 dst_sel:DWORD dst_unused:UNUSED_PAD src0_sel:WORD_1 src1_sel:DWORD
	v_fma_f16 v32, v22, s0, -v32
	v_add_f16_sdwa v48, v49, v40 dst_sel:DWORD dst_unused:UNUSED_PAD src0_sel:DWORD src1_sel:WORD_1
	v_add_f16_e32 v49, v50, v40
	v_add_f16_sdwa v50, v62, v40 dst_sel:DWORD dst_unused:UNUSED_PAD src0_sel:DWORD src1_sel:WORD_1
	v_add_f16_sdwa v62, v63, v40 dst_sel:DWORD dst_unused:UNUSED_PAD src0_sel:DWORD src1_sel:WORD_1
	;; [unrolled: 1-line block ×12, first 2 shown]
	v_pk_add_f16 v73, v74, v40 op_sel:[0,1] op_sel_hi:[1,0]
	v_fma_f16 v74, v21, s23, v42
	v_add_f16_e32 v32, v32, v47
	v_fma_f16 v42, v21, s21, v42
	v_mul_f16_sdwa v47, v21, s28 dst_sel:DWORD dst_unused:UNUSED_PAD src0_sel:WORD_1 src1_sel:DWORD
	v_add_f16_e32 v42, v42, v48
	v_fma_f16 v48, v22, s1, v47
	v_add_f16_e32 v51, v51, v40
	v_add_f16_e32 v48, v48, v49
	v_mul_f16_sdwa v49, v22, s1 dst_sel:DWORD dst_unused:UNUSED_PAD src0_sel:WORD_1 src1_sel:DWORD
	v_fma_f16 v47, v22, s1, -v47
	v_add_f16_e32 v46, v74, v46
	v_fma_f16 v74, v21, s6, v49
	v_add_f16_e32 v47, v47, v51
	v_fma_f16 v49, v21, s28, v49
	v_mul_f16_sdwa v51, v21, s20 dst_sel:DWORD dst_unused:UNUSED_PAD src0_sel:WORD_1 src1_sel:DWORD
	v_add_f16_e32 v52, v52, v40
	v_add_f16_e32 v49, v49, v62
	v_fma_f16 v62, v22, s12, v51
	v_add_f16_e32 v53, v53, v40
	v_add_f16_e32 v52, v62, v52
	v_mul_f16_sdwa v62, v22, s12 dst_sel:DWORD dst_unused:UNUSED_PAD src0_sel:WORD_1 src1_sel:DWORD
	v_fma_f16 v51, v22, s12, -v51
	v_add_f16_e32 v50, v74, v50
	v_fma_f16 v74, v21, s22, v62
	v_add_f16_e32 v51, v51, v53
	v_fma_f16 v53, v21, s20, v62
	v_mul_f16_sdwa v62, v21, s7 dst_sel:DWORD dst_unused:UNUSED_PAD src0_sel:WORD_1 src1_sel:DWORD
	v_add_f16_e32 v54, v54, v40
	;; [unrolled: 12-line block ×5, first 2 shown]
	v_add_f16_e32 v66, v66, v70
	v_fma_f16 v70, v22, s3, v68
	v_add_f16_e32 v61, v61, v40
	v_add_f16_e32 v60, v70, v60
	v_mul_f16_sdwa v70, v22, s3 dst_sel:DWORD dst_unused:UNUSED_PAD src0_sel:WORD_1 src1_sel:DWORD
	v_fma_f16 v68, v22, s3, -v68
	v_pk_mul_f16 v22, v22, s2 op_sel_hi:[1,0]
	v_pk_add_f16 v40, v75, v40 op_sel:[0,1] op_sel_hi:[1,0]
	v_add_f16_e32 v69, v74, v69
	v_fma_f16 v74, v21, s18, v70
	v_add_f16_e32 v61, v68, v61
	v_fma_f16 v68, v21, s19, v70
	v_pk_fma_f16 v70, v21, s27, v22 op_sel:[0,0,1] op_sel_hi:[1,0,0]
	v_pk_fma_f16 v21, v21, s27, v22 op_sel:[0,0,1] op_sel_hi:[1,0,0] neg_lo:[1,0,0] neg_hi:[1,0,0]
	v_mul_f16_sdwa v22, v34, s18 dst_sel:DWORD dst_unused:UNUSED_PAD src0_sel:WORD_1 src1_sel:DWORD
	v_pk_add_f16 v21, v21, v40
	v_fma_f16 v40, v39, s3, v22
	v_add_f16_e32 v33, v40, v33
	v_mul_f16_sdwa v40, v39, s3 dst_sel:DWORD dst_unused:UNUSED_PAD src0_sel:WORD_1 src1_sel:DWORD
	v_fma_f16 v22, v39, s3, -v22
	v_add_f16_e32 v68, v68, v72
	v_fma_f16 v72, v34, s19, v40
	v_add_f16_e32 v22, v22, v32
	v_fma_f16 v32, v34, s18, v40
	v_mul_f16_sdwa v40, v34, s20 dst_sel:DWORD dst_unused:UNUSED_PAD src0_sel:WORD_1 src1_sel:DWORD
	v_add_f16_e32 v32, v32, v42
	v_fma_f16 v42, v39, s12, v40
	v_add_f16_e32 v42, v42, v48
	v_mul_f16_sdwa v48, v39, s12 dst_sel:DWORD dst_unused:UNUSED_PAD src0_sel:WORD_1 src1_sel:DWORD
	v_fma_f16 v40, v39, s12, -v40
	v_add_f16_e32 v46, v72, v46
	v_fma_f16 v72, v34, s22, v48
	v_add_f16_e32 v40, v40, v47
	v_fma_f16 v47, v34, s20, v48
	v_mul_f16_sdwa v48, v34, s29 dst_sel:DWORD dst_unused:UNUSED_PAD src0_sel:WORD_1 src1_sel:DWORD
	v_add_f16_e32 v47, v47, v49
	;; [unrolled: 10-line block ×6, first 2 shown]
	v_fma_f16 v66, v39, s1, v64
	v_add_f16_e32 v60, v66, v60
	v_mul_f16_sdwa v66, v39, s1 dst_sel:DWORD dst_unused:UNUSED_PAD src0_sel:WORD_1 src1_sel:DWORD
	v_fma_f16 v64, v39, s1, -v64
	v_pk_mul_f16 v39, v39, s15 op_sel_hi:[1,0]
	v_add_f16_e32 v69, v72, v69
	v_fma_f16 v72, v34, s6, v66
	v_add_f16_e32 v61, v64, v61
	v_fma_f16 v64, v34, s28, v66
	v_pk_fma_f16 v66, v34, s24, v39 op_sel:[0,0,1] op_sel_hi:[1,0,0]
	v_pk_fma_f16 v34, v34, s24, v39 op_sel:[0,0,1] op_sel_hi:[1,0,0] neg_lo:[1,0,0] neg_hi:[1,0,0]
	v_pk_add_f16 v21, v34, v21
	v_mul_f16_sdwa v34, v35, s28 dst_sel:DWORD dst_unused:UNUSED_PAD src0_sel:WORD_1 src1_sel:DWORD
	v_fma_f16 v39, v38, s1, v34
	v_add_f16_e32 v33, v39, v33
	v_mul_f16_sdwa v39, v38, s1 dst_sel:DWORD dst_unused:UNUSED_PAD src0_sel:WORD_1 src1_sel:DWORD
	v_fma_f16 v34, v38, s1, -v34
	v_add_f16_e32 v22, v34, v22
	v_fma_f16 v34, v35, s28, v39
	v_add_f16_e32 v32, v34, v32
	v_mul_f16_sdwa v34, v35, s7 dst_sel:DWORD dst_unused:UNUSED_PAD src0_sel:WORD_1 src1_sel:DWORD
	v_add_f16_e32 v64, v64, v68
	v_fma_f16 v68, v35, s6, v39
	v_fma_f16 v39, v38, s14, v34
	v_add_f16_e32 v39, v39, v42
	v_mul_f16_sdwa v42, v38, s14 dst_sel:DWORD dst_unused:UNUSED_PAD src0_sel:WORD_1 src1_sel:DWORD
	v_fma_f16 v34, v38, s14, -v34
	v_add_f16_e32 v46, v68, v46
	v_fma_f16 v68, v35, s29, v42
	v_add_f16_e32 v34, v34, v40
	v_fma_f16 v40, v35, s7, v42
	v_mul_f16_sdwa v42, v35, s17 dst_sel:DWORD dst_unused:UNUSED_PAD src0_sel:WORD_1 src1_sel:DWORD
	v_add_f16_e32 v40, v40, v47
	v_fma_f16 v47, v38, s13, v42
	v_add_f16_e32 v47, v47, v49
	v_mul_f16_sdwa v49, v38, s13 dst_sel:DWORD dst_unused:UNUSED_PAD src0_sel:WORD_1 src1_sel:DWORD
	v_fma_f16 v42, v38, s13, -v42
	v_add_f16_e32 v50, v68, v50
	v_fma_f16 v68, v35, s16, v49
	v_add_f16_e32 v42, v42, v48
	v_fma_f16 v48, v35, s17, v49
	v_mul_f16_sdwa v49, v35, s27 dst_sel:DWORD dst_unused:UNUSED_PAD src0_sel:WORD_1 src1_sel:DWORD
	v_add_f16_e32 v48, v48, v51
	;; [unrolled: 10-line block ×5, first 2 shown]
	v_fma_f16 v62, v38, s12, v59
	v_add_f16_e32 v60, v62, v60
	v_mul_f16_sdwa v62, v38, s12 dst_sel:DWORD dst_unused:UNUSED_PAD src0_sel:WORD_1 src1_sel:DWORD
	v_fma_f16 v59, v38, s12, -v59
	v_pk_mul_f16 v38, v38, s0 op_sel_hi:[1,0]
	v_add_f16_e32 v68, v68, v69
	v_fma_f16 v69, v35, s20, v62
	v_add_f16_e32 v59, v59, v61
	v_fma_f16 v61, v35, s22, v62
	v_pk_fma_f16 v62, v35, s23, v38 op_sel:[0,0,1] op_sel_hi:[1,0,0]
	v_pk_fma_f16 v35, v35, s23, v38 op_sel:[0,0,1] op_sel_hi:[1,0,0] neg_lo:[1,0,0] neg_hi:[1,0,0]
	v_pk_add_f16 v21, v35, v21
	v_mul_f16_sdwa v35, v36, s16 dst_sel:DWORD dst_unused:UNUSED_PAD src0_sel:WORD_1 src1_sel:DWORD
	v_fma_f16 v38, v45, s13, v35
	v_add_f16_e32 v33, v38, v33
	v_mul_f16_sdwa v38, v45, s13 dst_sel:DWORD dst_unused:UNUSED_PAD src0_sel:WORD_1 src1_sel:DWORD
	v_fma_f16 v35, v45, s13, -v35
	v_add_f16_e32 v22, v35, v22
	v_fma_f16 v35, v36, s16, v38
	v_add_f16_e32 v32, v35, v32
	v_mul_f16_sdwa v35, v36, s25 dst_sel:DWORD dst_unused:UNUSED_PAD src0_sel:WORD_1 src1_sel:DWORD
	v_add_f16_e32 v61, v61, v64
	v_fma_f16 v64, v36, s17, v38
	v_fma_f16 v38, v45, s15, v35
	v_add_f16_e32 v38, v38, v39
	v_mul_f16_sdwa v39, v45, s15 dst_sel:DWORD dst_unused:UNUSED_PAD src0_sel:WORD_1 src1_sel:DWORD
	v_fma_f16 v35, v45, s15, -v35
	v_add_f16_e32 v46, v64, v46
	v_fma_f16 v64, v36, s24, v39
	v_add_f16_e32 v34, v35, v34
	v_fma_f16 v35, v36, s25, v39
	v_mul_f16_sdwa v39, v36, s23 dst_sel:DWORD dst_unused:UNUSED_PAD src0_sel:WORD_1 src1_sel:DWORD
	v_add_f16_e32 v35, v35, v40
	v_fma_f16 v40, v45, s0, v39
	v_add_f16_e32 v40, v40, v47
	v_mul_f16_sdwa v47, v45, s0 dst_sel:DWORD dst_unused:UNUSED_PAD src0_sel:WORD_1 src1_sel:DWORD
	v_fma_f16 v39, v45, s0, -v39
	v_add_f16_e32 v50, v64, v50
	v_fma_f16 v64, v36, s21, v47
	v_add_f16_e32 v39, v39, v42
	v_fma_f16 v42, v36, s23, v47
	v_mul_f16_sdwa v47, v36, s18 dst_sel:DWORD dst_unused:UNUSED_PAD src0_sel:WORD_1 src1_sel:DWORD
	v_add_f16_e32 v42, v42, v48
	;; [unrolled: 10-line block ×3, first 2 shown]
	v_fma_f16 v52, v45, s14, v51
	v_add_f16_e32 v52, v52, v54
	v_mul_f16_sdwa v54, v45, s14 dst_sel:DWORD dst_unused:UNUSED_PAD src0_sel:WORD_1 src1_sel:DWORD
	v_fma_f16 v51, v45, s14, -v51
	v_add_f16_e32 v64, v64, v65
	v_fma_f16 v65, v36, s29, v54
	v_add_f16_e32 v51, v51, v53
	v_fma_f16 v53, v36, s7, v54
	v_mul_f16_sdwa v54, v36, s6 dst_sel:DWORD dst_unused:UNUSED_PAD src0_sel:WORD_1 src1_sel:DWORD
	v_pk_add_f16 v70, v70, v73
	v_add_f16_e32 v53, v53, v55
	v_fma_f16 v55, v45, s1, v54
	v_pk_add_f16 v66, v66, v70
	v_add_f16_e32 v55, v55, v57
	v_mul_f16_sdwa v57, v45, s1 dst_sel:DWORD dst_unused:UNUSED_PAD src0_sel:WORD_1 src1_sel:DWORD
	v_fma_f16 v54, v45, s1, -v54
	v_pk_add_f16 v62, v62, v66
	v_fma_f16 v66, v36, s28, v57
	v_add_f16_e32 v54, v54, v56
	v_fma_f16 v56, v36, s6, v57
	v_mul_f16_sdwa v57, v36, s26 dst_sel:DWORD dst_unused:UNUSED_PAD src0_sel:WORD_1 src1_sel:DWORD
	v_add_f16_e32 v56, v56, v58
	v_fma_f16 v58, v45, s2, v57
	v_add_f16_e32 v58, v58, v60
	v_mul_f16_sdwa v60, v45, s2 dst_sel:DWORD dst_unused:UNUSED_PAD src0_sel:WORD_1 src1_sel:DWORD
	v_fma_f16 v57, v45, s2, -v57
	v_pk_mul_f16 v45, v45, s12 op_sel_hi:[1,0]
	v_add_f16_e32 v65, v65, v67
	v_fma_f16 v67, v36, s27, v60
	v_add_f16_e32 v57, v57, v59
	v_fma_f16 v59, v36, s26, v60
	v_pk_fma_f16 v60, v36, s20, v45 op_sel:[0,0,1] op_sel_hi:[1,0,0]
	v_pk_fma_f16 v36, v36, s20, v45 op_sel:[0,0,1] op_sel_hi:[1,0,0] neg_lo:[1,0,0] neg_hi:[1,0,0]
	v_pk_add_f16 v21, v36, v21
	v_mul_f16_sdwa v36, v37, s20 dst_sel:DWORD dst_unused:UNUSED_PAD src0_sel:WORD_1 src1_sel:DWORD
	v_fma_f16 v45, v44, s12, v36
	v_add_f16_e32 v33, v45, v33
	v_mul_f16_sdwa v45, v44, s12 dst_sel:DWORD dst_unused:UNUSED_PAD src0_sel:WORD_1 src1_sel:DWORD
	v_fma_f16 v36, v44, s12, -v36
	v_add_f16_e32 v22, v36, v22
	v_fma_f16 v36, v37, s20, v45
	v_add_f16_e32 v32, v36, v32
	v_mul_f16_sdwa v36, v37, s17 dst_sel:DWORD dst_unused:UNUSED_PAD src0_sel:WORD_1 src1_sel:DWORD
	v_add_f16_e32 v59, v59, v61
	v_fma_f16 v61, v37, s22, v45
	v_fma_f16 v45, v44, s13, v36
	v_add_f16_e32 v38, v45, v38
	v_mul_f16_sdwa v45, v44, s13 dst_sel:DWORD dst_unused:UNUSED_PAD src0_sel:WORD_1 src1_sel:DWORD
	v_fma_f16 v36, v44, s13, -v36
	v_add_f16_e32 v34, v36, v34
	v_fma_f16 v36, v37, s17, v45
	v_add_f16_e32 v35, v36, v35
	v_mul_f16_sdwa v36, v37, s26 dst_sel:DWORD dst_unused:UNUSED_PAD src0_sel:WORD_1 src1_sel:DWORD
	v_add_f16_e32 v46, v61, v46
	v_fma_f16 v61, v37, s16, v45
	;; [unrolled: 10-line block ×3, first 2 shown]
	v_fma_f16 v45, v44, s15, v42
	v_add_f16_e32 v45, v45, v48
	v_mul_f16_sdwa v48, v44, s15 dst_sel:DWORD dst_unused:UNUSED_PAD src0_sel:WORD_1 src1_sel:DWORD
	v_fma_f16 v42, v44, s15, -v42
	v_pk_add_f16 v60, v60, v62
	v_fma_f16 v62, v37, s25, v48
	v_add_f16_e32 v42, v42, v47
	v_fma_f16 v47, v37, s24, v48
	v_mul_f16_sdwa v48, v37, s6 dst_sel:DWORD dst_unused:UNUSED_PAD src0_sel:WORD_1 src1_sel:DWORD
	v_add_f16_e32 v47, v47, v49
	v_fma_f16 v49, v44, s1, v48
	v_add_f16_e32 v49, v49, v52
	v_mul_f16_sdwa v52, v44, s1 dst_sel:DWORD dst_unused:UNUSED_PAD src0_sel:WORD_1 src1_sel:DWORD
	v_fma_f16 v48, v44, s1, -v48
	v_add_f16_e32 v61, v61, v63
	v_fma_f16 v63, v37, s28, v52
	v_add_f16_e32 v48, v48, v51
	v_fma_f16 v51, v37, s6, v52
	v_mul_f16_sdwa v52, v37, s21 dst_sel:DWORD dst_unused:UNUSED_PAD src0_sel:WORD_1 src1_sel:DWORD
	v_add_f16_e32 v51, v51, v53
	v_fma_f16 v53, v44, s0, v52
	v_add_f16_e32 v53, v53, v55
	v_mul_f16_sdwa v55, v44, s0 dst_sel:DWORD dst_unused:UNUSED_PAD src0_sel:WORD_1 src1_sel:DWORD
	v_fma_f16 v52, v44, s0, -v52
	v_add_f16_e32 v62, v62, v64
	v_fma_f16 v64, v37, s23, v55
	v_add_f16_e32 v52, v52, v54
	v_fma_f16 v54, v37, s21, v55
	v_mul_f16_sdwa v55, v37, s7 dst_sel:DWORD dst_unused:UNUSED_PAD src0_sel:WORD_1 src1_sel:DWORD
	v_add_f16_e32 v54, v54, v56
	v_fma_f16 v56, v44, s14, v55
	v_add_f16_e32 v56, v56, v58
	v_mul_f16_sdwa v58, v44, s14 dst_sel:DWORD dst_unused:UNUSED_PAD src0_sel:WORD_1 src1_sel:DWORD
	v_fma_f16 v55, v44, s14, -v55
	v_pk_mul_f16 v44, v44, s3 op_sel_hi:[1,0]
	v_add_f16_e32 v63, v63, v65
	v_fma_f16 v65, v37, s29, v58
	v_add_f16_e32 v55, v55, v57
	v_fma_f16 v57, v37, s7, v58
	v_pk_fma_f16 v58, v37, s19, v44 op_sel:[0,0,1] op_sel_hi:[1,0,0]
	v_pk_fma_f16 v37, v37, s19, v44 op_sel:[0,0,1] op_sel_hi:[1,0,0] neg_lo:[1,0,0] neg_hi:[1,0,0]
	v_pk_add_f16 v21, v37, v21
	v_mul_f16_sdwa v37, v41, s24 dst_sel:DWORD dst_unused:UNUSED_PAD src0_sel:WORD_1 src1_sel:DWORD
	v_fma_f16 v44, v43, s15, v37
	v_add_f16_e32 v33, v44, v33
	v_mul_f16_sdwa v44, v43, s15 dst_sel:DWORD dst_unused:UNUSED_PAD src0_sel:WORD_1 src1_sel:DWORD
	v_fma_f16 v37, v43, s15, -v37
	v_add_f16_e32 v22, v37, v22
	v_fma_f16 v37, v41, s24, v44
	v_add_f16_e32 v32, v37, v32
	v_mul_f16_sdwa v37, v41, s19 dst_sel:DWORD dst_unused:UNUSED_PAD src0_sel:WORD_1 src1_sel:DWORD
	v_add_f16_e32 v57, v57, v59
	v_fma_f16 v59, v41, s25, v44
	v_fma_f16 v44, v43, s3, v37
	v_add_f16_e32 v38, v44, v38
	v_mul_f16_sdwa v44, v43, s3 dst_sel:DWORD dst_unused:UNUSED_PAD src0_sel:WORD_1 src1_sel:DWORD
	v_fma_f16 v37, v43, s3, -v37
	v_add_f16_e32 v34, v37, v34
	v_fma_f16 v37, v41, s19, v44
	v_add_f16_e32 v35, v37, v35
	v_mul_f16_sdwa v37, v41, s28 dst_sel:DWORD dst_unused:UNUSED_PAD src0_sel:WORD_1 src1_sel:DWORD
	v_add_f16_e32 v46, v59, v46
	v_fma_f16 v59, v41, s18, v44
	;; [unrolled: 10-line block ×3, first 2 shown]
	v_fma_f16 v44, v43, s12, v39
	v_add_f16_e32 v44, v44, v45
	v_mul_f16_sdwa v45, v43, s12 dst_sel:DWORD dst_unused:UNUSED_PAD src0_sel:WORD_1 src1_sel:DWORD
	v_fma_f16 v39, v43, s12, -v39
	v_pk_add_f16 v58, v58, v60
	v_fma_f16 v60, v41, s20, v45
	v_add_f16_e32 v39, v39, v42
	v_fma_f16 v42, v41, s22, v45
	v_mul_f16_sdwa v45, v41, s26 dst_sel:DWORD dst_unused:UNUSED_PAD src0_sel:WORD_1 src1_sel:DWORD
	v_add_f16_e32 v42, v42, v47
	v_fma_f16 v47, v43, s2, v45
	v_add_f16_e32 v47, v47, v49
	v_mul_f16_sdwa v49, v43, s2 dst_sel:DWORD dst_unused:UNUSED_PAD src0_sel:WORD_1 src1_sel:DWORD
	v_fma_f16 v45, v43, s2, -v45
	v_add_f16_e32 v59, v59, v61
	v_fma_f16 v61, v41, s27, v49
	v_add_f16_e32 v45, v45, v48
	v_fma_f16 v48, v41, s26, v49
	v_mul_f16_sdwa v49, v41, s7 dst_sel:DWORD dst_unused:UNUSED_PAD src0_sel:WORD_1 src1_sel:DWORD
	v_add_f16_e32 v48, v48, v51
	v_fma_f16 v51, v43, s14, v49
	v_add_f16_e32 v51, v51, v53
	v_mul_f16_sdwa v53, v43, s14 dst_sel:DWORD dst_unused:UNUSED_PAD src0_sel:WORD_1 src1_sel:DWORD
	v_fma_f16 v49, v43, s14, -v49
	v_add_f16_e32 v60, v60, v62
	v_fma_f16 v62, v41, s29, v53
	v_add_f16_e32 v49, v49, v52
	v_fma_f16 v52, v41, s7, v53
	v_mul_f16_sdwa v53, v41, s23 dst_sel:DWORD dst_unused:UNUSED_PAD src0_sel:WORD_1 src1_sel:DWORD
	v_add_f16_e32 v52, v52, v54
	v_fma_f16 v54, v43, s0, v53
	v_add_f16_e32 v54, v54, v56
	v_mul_f16_sdwa v56, v43, s0 dst_sel:DWORD dst_unused:UNUSED_PAD src0_sel:WORD_1 src1_sel:DWORD
	v_fma_f16 v53, v43, s0, -v53
	v_pk_mul_f16 v43, v43, s13 op_sel_hi:[1,0]
	v_add_f16_e32 v61, v61, v63
	v_fma_f16 v63, v41, s21, v56
	v_add_f16_e32 v53, v53, v55
	v_fma_f16 v55, v41, s23, v56
	v_pk_fma_f16 v56, v41, s16, v43 op_sel:[0,0,1] op_sel_hi:[1,0,0]
	v_pk_fma_f16 v41, v41, s16, v43 op_sel:[0,0,1] op_sel_hi:[1,0,0] neg_lo:[1,0,0] neg_hi:[1,0,0]
	v_pk_add_f16 v21, v41, v21
	v_alignbit_b32 v41, v2, v1, 16
	v_alignbit_b32 v43, v1, v2, 16
	v_pk_add_f16 v41, v41, v43
	v_pk_add_f16 v1, v1, v2 neg_lo:[0,1] neg_hi:[0,1]
	v_lshrrev_b32_e32 v2, 16, v41
	v_mul_f16_sdwa v43, v1, s7 dst_sel:DWORD dst_unused:UNUSED_PAD src0_sel:WORD_1 src1_sel:DWORD
	v_add_f16_e32 v55, v55, v57
	v_fma_f16 v57, v2, s14, v43
	v_add_f16_e32 v33, v57, v33
	v_mul_f16_e32 v57, 0xbbdd, v41
	v_fma_f16 v43, v2, s14, -v43
	v_add_f16_e32 v22, v43, v22
	v_fma_f16 v43, v1, s7, v57
	v_add_f16_e32 v32, v43, v32
	v_mul_f16_sdwa v43, v1, s27 dst_sel:DWORD dst_unused:UNUSED_PAD src0_sel:WORD_1 src1_sel:DWORD
	v_pk_add_f16 v56, v56, v58
	v_fma_f16 v58, v1, s29, v57
	v_fma_f16 v57, v2, s2, v43
	v_add_f16_e32 v38, v57, v38
	v_mul_f16_e32 v57, 0x3b76, v41
	v_fma_f16 v43, v2, s2, -v43
	v_add_f16_e32 v34, v43, v34
	v_fma_f16 v43, v1, s27, v57
	v_add_f16_e32 v35, v43, v35
	v_mul_f16_sdwa v43, v1, s24 dst_sel:DWORD dst_unused:UNUSED_PAD src0_sel:WORD_1 src1_sel:DWORD
	v_add_f16_e32 v46, v58, v46
	v_fma_f16 v58, v1, s26, v57
	v_fma_f16 v57, v2, s15, v43
	v_add_f16_e32 v40, v57, v40
	v_mul_f16_e32 v57, 0xbacd, v41
	v_fma_f16 v43, v2, s15, -v43
	v_add_f16_e32 v36, v43, v36
	v_fma_f16 v43, v1, s24, v57
	v_add_f16_e32 v37, v43, v37
	v_mul_f16_sdwa v43, v1, s23 dst_sel:DWORD dst_unused:UNUSED_PAD src0_sel:WORD_1 src1_sel:DWORD
	v_add_f16_e32 v50, v58, v50
	;; [unrolled: 10-line block ×4, first 2 shown]
	v_fma_f16 v60, v1, s22, v57
	v_fma_f16 v57, v2, s3, v48
	v_add_f16_e32 v51, v57, v51
	v_mul_f16_e32 v57, 0x3722, v41
	v_fma_f16 v48, v2, s3, -v48
	v_add_f16_e32 v48, v48, v49
	v_fma_f16 v49, v1, s19, v57
	v_add_f16_e32 v66, v66, v68
	v_add_f16_e32 v49, v49, v52
	v_mul_f16_sdwa v52, v1, s16 dst_sel:DWORD dst_unused:UNUSED_PAD src0_sel:WORD_1 src1_sel:DWORD
	v_add_f16_e32 v71, v74, v71
	v_add_f16_e32 v64, v64, v66
	;; [unrolled: 1-line block ×3, first 2 shown]
	v_fma_f16 v61, v1, s18, v57
	v_fma_f16 v57, v2, s13, v52
	v_add_f16_e32 v71, v72, v71
	v_add_f16_e32 v62, v62, v64
	;; [unrolled: 1-line block ×3, first 2 shown]
	v_mul_f16_e32 v57, 0xb461, v41
	v_add_f16_e32 v69, v69, v71
	v_add_f16_e32 v61, v61, v62
	v_fma_f16 v62, v1, s17, v57
	v_fma_f16 v2, v2, s13, -v52
	v_fma_f16 v52, v1, s16, v57
	v_pk_mul_f16 v1, v1, s6 op_sel_hi:[1,0]
	v_add_f16_e32 v67, v67, v69
	v_add_f16_e32 v2, v2, v53
	v_pk_fma_f16 v53, v41, s1, v1 op_sel_hi:[1,0,1]
	v_pk_fma_f16 v1, v41, s1, v1 op_sel_hi:[1,0,1] neg_lo:[0,0,1] neg_hi:[0,0,1]
	v_add_f16_e32 v65, v65, v67
	v_pk_add_f16 v1, v1, v21
	v_pack_b32_f16 v21, v38, v50
	v_pack_b32_f16 v33, v33, v46
	v_add_f16_e32 v63, v63, v65
	ds_write2_b32 v23, v33, v21 offset0:1 offset1:2
	v_pack_b32_f16 v21, v44, v59
	v_pack_b32_f16 v33, v40, v58
	v_add_f16_e32 v62, v62, v63
	ds_write2_b32 v23, v33, v21 offset0:3 offset1:4
	v_pack_b32_f16 v21, v51, v61
	v_pack_b32_f16 v33, v47, v60
	v_pk_add_f16 v53, v53, v56
	ds_write2_b32 v23, v33, v21 offset0:5 offset1:6
	v_pack_b32_f16 v21, v54, v62
	v_add_f16_e32 v52, v52, v55
	ds_write2_b32 v23, v3, v21 offset1:7
	v_alignbit_b32 v3, v53, v1, 16
	v_alignbit_b32 v1, v1, v53, 16
	ds_write2_b32 v23, v1, v3 offset0:8 offset1:9
	v_pack_b32_f16 v1, v48, v49
	v_pack_b32_f16 v2, v2, v52
	ds_write2_b32 v23, v2, v1 offset0:10 offset1:11
	v_pack_b32_f16 v1, v39, v42
	v_pack_b32_f16 v2, v43, v45
	;; [unrolled: 3-line block ×3, first 2 shown]
	ds_write2_b32 v23, v2, v1 offset0:14 offset1:15
	v_pack_b32_f16 v1, v22, v32
	ds_write_b32 v23, v1 offset:64
	s_waitcnt lgkmcnt(0)
	s_barrier
	ds_read2_b32 v[2:3], v23 offset1:1
	ds_read2_b32 v[33:34], v23 offset0:2 offset1:3
	ds_read2_b32 v[35:36], v23 offset0:4 offset1:5
	;; [unrolled: 1-line block ×3, first 2 shown]
	s_mov_b32 s2, 0x1e1e1e1e
	s_waitcnt lgkmcnt(3)
	v_lshrrev_b32_e32 v32, 16, v2
	v_mul_f16_sdwa v1, v16, v32 dst_sel:DWORD dst_unused:UNUSED_PAD src0_sel:WORD_1 src1_sel:DWORD
	v_fma_f16 v1, v16, v2, v1
	v_cvt_f32_f16_e32 v1, v1
	s_mov_b32 s3, 0x3fae1e1e
	v_mad_u64_u32 v[37:38], s[0:1], s10, v20, 0
	v_cvt_f64_f32_e32 v[39:40], v1
	s_movk_i32 s6, 0x40f
	v_mov_b32_e32 v1, v38
	v_mad_u64_u32 v[41:42], s[0:1], s11, v20, v[1:2]
	v_mul_f64 v[39:40], v[39:40], s[2:3]
	s_load_dwordx2 s[10:11], s[4:5], 0x38
	s_movk_i32 s4, 0x1ff
	v_mov_b32_e32 v38, v41
	s_movk_i32 s5, 0xffe
	v_mul_f16_sdwa v2, v16, v2 dst_sel:DWORD dst_unused:UNUSED_PAD src0_sel:WORD_1 src1_sel:DWORD
	v_fma_f16 v2, v16, v32, -v2
	v_cvt_f32_f16_e32 v2, v2
	v_and_or_b32 v1, v40, s4, v39
	v_cmp_ne_u32_e32 vcc, 0, v1
	v_cndmask_b32_e64 v1, 0, 1, vcc
	v_lshrrev_b32_e32 v39, 8, v40
	v_bfe_u32 v41, v40, 20, 11
	v_and_or_b32 v39, v39, s5, v1
	v_sub_u32_e32 v42, 0x3f1, v41
	v_or_b32_e32 v1, 0x1000, v39
	v_med3_i32 v42, v42, 0, 13
	v_lshrrev_b32_e32 v43, v42, v1
	v_lshlrev_b32_e32 v42, v42, v43
	v_cmp_ne_u32_e32 vcc, v42, v1
	v_cndmask_b32_e64 v1, 0, 1, vcc
	v_add_u32_e32 v41, 0xfffffc10, v41
	v_or_b32_e32 v1, v43, v1
	v_lshl_or_b32 v42, v41, 12, v39
	v_cmp_gt_i32_e32 vcc, 1, v41
	v_cndmask_b32_e32 v1, v42, v1, vcc
	v_and_b32_e32 v42, 7, v1
	v_cmp_lt_i32_e32 vcc, 5, v42
	v_cmp_eq_u32_e64 s[0:1], 3, v42
	v_lshrrev_b32_e32 v1, 2, v1
	s_or_b64 vcc, s[0:1], vcc
	v_addc_co_u32_e32 v16, vcc, 0, v1, vcc
	v_cvt_f64_f32_e32 v[1:2], v2
	v_mov_b32_e32 v32, 0x7c00
	v_cmp_gt_i32_e32 vcc, 31, v41
	v_cndmask_b32_e32 v16, v32, v16, vcc
	v_mul_f64 v[1:2], v[1:2], s[2:3]
	v_cmp_ne_u32_e32 vcc, 0, v39
	v_cndmask_b32_e64 v39, 0, 1, vcc
	v_lshl_or_b32 v39, v39, 9, v32
	v_cmp_eq_u32_e32 vcc, s6, v41
	v_cndmask_b32_e32 v16, v16, v39, vcc
	v_lshrrev_b32_e32 v39, 16, v40
	s_mov_b32 s7, 0x8000
	v_and_or_b32 v1, v2, s4, v1
	v_cmp_ne_u32_e32 vcc, 0, v1
	v_and_or_b32 v16, v39, s7, v16
	v_cndmask_b32_e64 v1, 0, 1, vcc
	v_lshrrev_b32_e32 v39, 8, v2
	v_bfe_u32 v40, v2, 20, 11
	v_and_or_b32 v1, v39, s5, v1
	v_sub_u32_e32 v41, 0x3f1, v40
	v_or_b32_e32 v39, 0x1000, v1
	v_med3_i32 v41, v41, 0, 13
	v_lshrrev_b32_e32 v42, v41, v39
	v_lshlrev_b32_e32 v41, v41, v42
	v_cmp_ne_u32_e32 vcc, v41, v39
	v_cndmask_b32_e64 v39, 0, 1, vcc
	v_add_u32_e32 v40, 0xfffffc10, v40
	v_or_b32_e32 v39, v42, v39
	v_lshl_or_b32 v41, v40, 12, v1
	v_cmp_gt_i32_e32 vcc, 1, v40
	v_cndmask_b32_e32 v39, v41, v39, vcc
	v_and_b32_e32 v41, 7, v39
	v_lshrrev_b32_e32 v20, 16, v3
	v_cmp_lt_i32_e32 vcc, 5, v41
	v_cmp_eq_u32_e64 s[0:1], 3, v41
	v_lshrrev_b32_e32 v39, 2, v39
	s_or_b64 vcc, s[0:1], vcc
	v_mul_f16_e32 v41, v31, v20
	v_addc_co_u32_e32 v39, vcc, 0, v39, vcc
	v_fma_f16 v41, v17, v3, v41
	v_cmp_gt_i32_e32 vcc, 31, v40
	v_cvt_f32_f16_e32 v41, v41
	v_cndmask_b32_e32 v39, v32, v39, vcc
	v_cmp_ne_u32_e32 vcc, 0, v1
	v_cndmask_b32_e64 v1, 0, 1, vcc
	v_lshl_or_b32 v1, v1, 9, v32
	v_cmp_eq_u32_e32 vcc, s6, v40
	v_cndmask_b32_e32 v39, v39, v1, vcc
	v_lshrrev_b32_e32 v40, 16, v2
	v_cvt_f64_f32_e32 v[1:2], v41
	v_and_or_b32 v39, v40, s7, v39
	v_and_b32_e32 v16, 0xffff, v16
	v_lshl_or_b32 v16, v39, 16, v16
	v_mul_f64 v[39:40], v[1:2], s[2:3]
	v_lshlrev_b64 v[1:2], 2, v[37:38]
	s_waitcnt lgkmcnt(0)
	v_mov_b32_e32 v37, s11
	v_add_co_u32_e32 v1, vcc, s10, v1
	v_addc_co_u32_e32 v2, vcc, v37, v2, vcc
	global_store_dword v[1:2], v16, off
	v_and_or_b32 v16, v40, s4, v39
	v_cmp_ne_u32_e32 vcc, 0, v16
	v_cndmask_b32_e64 v16, 0, 1, vcc
	v_lshrrev_b32_e32 v37, 8, v40
	v_bfe_u32 v38, v40, 20, 11
	v_and_or_b32 v37, v37, s5, v16
	v_sub_u32_e32 v39, 0x3f1, v38
	v_or_b32_e32 v16, 0x1000, v37
	v_med3_i32 v39, v39, 0, 13
	v_lshrrev_b32_e32 v41, v39, v16
	v_mul_f16_e32 v3, v31, v3
	v_lshlrev_b32_e32 v39, v39, v41
	v_fma_f16 v3, v17, v20, -v3
	v_cmp_ne_u32_e32 vcc, v39, v16
	v_cvt_f32_f16_e32 v3, v3
	v_cndmask_b32_e64 v16, 0, 1, vcc
	v_add_u32_e32 v38, 0xfffffc10, v38
	v_or_b32_e32 v16, v41, v16
	v_lshl_or_b32 v39, v38, 12, v37
	v_cmp_gt_i32_e32 vcc, 1, v38
	v_cndmask_b32_e32 v16, v39, v16, vcc
	v_and_b32_e32 v39, 7, v16
	v_lshrrev_b32_e32 v20, 2, v16
	v_cvt_f64_f32_e32 v[16:17], v3
	v_cmp_lt_i32_e32 vcc, 5, v39
	v_cmp_eq_u32_e64 s[0:1], 3, v39
	s_or_b64 vcc, s[0:1], vcc
	v_mul_f64 v[16:17], v[16:17], s[2:3]
	v_addc_co_u32_e32 v3, vcc, 0, v20, vcc
	v_cmp_gt_i32_e32 vcc, 31, v38
	v_cndmask_b32_e32 v3, v32, v3, vcc
	v_cmp_ne_u32_e32 vcc, 0, v37
	v_cndmask_b32_e64 v20, 0, 1, vcc
	v_lshl_or_b32 v20, v20, 9, v32
	v_cmp_eq_u32_e32 vcc, s6, v38
	v_and_or_b32 v16, v17, s4, v16
	v_cndmask_b32_e32 v3, v3, v20, vcc
	v_lshrrev_b32_e32 v20, 16, v40
	v_cmp_ne_u32_e32 vcc, 0, v16
	v_and_or_b32 v3, v20, s7, v3
	v_cndmask_b32_e64 v16, 0, 1, vcc
	v_lshrrev_b32_e32 v20, 8, v17
	v_bfe_u32 v31, v17, 20, 11
	v_and_or_b32 v16, v20, s5, v16
	v_sub_u32_e32 v37, 0x3f1, v31
	v_or_b32_e32 v20, 0x1000, v16
	v_med3_i32 v37, v37, 0, 13
	v_lshrrev_b32_e32 v38, v37, v20
	v_lshlrev_b32_e32 v37, v37, v38
	v_cmp_ne_u32_e32 vcc, v37, v20
	v_cndmask_b32_e64 v20, 0, 1, vcc
	v_add_u32_e32 v31, 0xfffffc10, v31
	v_or_b32_e32 v20, v38, v20
	v_lshl_or_b32 v37, v31, 12, v16
	v_cmp_gt_i32_e32 vcc, 1, v31
	v_cndmask_b32_e32 v20, v37, v20, vcc
	v_and_b32_e32 v37, 7, v20
	v_cmp_lt_i32_e32 vcc, 5, v37
	v_cmp_eq_u32_e64 s[0:1], 3, v37
	v_lshrrev_b32_e32 v20, 2, v20
	s_or_b64 vcc, s[0:1], vcc
	v_lshrrev_b32_e32 v39, 16, v33
	v_addc_co_u32_e32 v20, vcc, 0, v20, vcc
	v_mul_f16_sdwa v37, v18, v39 dst_sel:DWORD dst_unused:UNUSED_PAD src0_sel:WORD_1 src1_sel:DWORD
	v_cmp_gt_i32_e32 vcc, 31, v31
	v_fma_f16 v37, v18, v33, v37
	v_cndmask_b32_e32 v20, v32, v20, vcc
	v_cmp_ne_u32_e32 vcc, 0, v16
	v_cvt_f32_f16_e32 v37, v37
	v_cndmask_b32_e64 v16, 0, 1, vcc
	v_lshl_or_b32 v16, v16, 9, v32
	v_cmp_eq_u32_e32 vcc, s6, v31
	v_cndmask_b32_e32 v16, v20, v16, vcc
	v_lshrrev_b32_e32 v17, 16, v17
	v_and_or_b32 v20, v17, s7, v16
	v_cvt_f64_f32_e32 v[16:17], v37
	v_and_b32_e32 v3, 0xffff, v3
	s_lshl_b64 s[0:1], s[8:9], 2
	v_lshl_or_b32 v3, v20, 16, v3
	v_mul_f64 v[16:17], v[16:17], s[2:3]
	v_mov_b32_e32 v20, s1
	v_add_co_u32_e32 v37, vcc, s0, v1
	v_addc_co_u32_e32 v38, vcc, v2, v20, vcc
	global_store_dword v[37:38], v3, off
	v_mul_f16_sdwa v33, v18, v33 dst_sel:DWORD dst_unused:UNUSED_PAD src0_sel:WORD_1 src1_sel:DWORD
	v_and_or_b32 v16, v17, s4, v16
	v_cmp_ne_u32_e32 vcc, 0, v16
	v_cndmask_b32_e64 v16, 0, 1, vcc
	v_lshrrev_b32_e32 v20, 8, v17
	v_bfe_u32 v31, v17, 20, 11
	v_and_or_b32 v16, v20, s5, v16
	v_sub_u32_e32 v37, 0x3f1, v31
	v_or_b32_e32 v20, 0x1000, v16
	v_med3_i32 v37, v37, 0, 13
	v_lshrrev_b32_e32 v38, v37, v20
	v_lshlrev_b32_e32 v37, v37, v38
	v_cmp_ne_u32_e32 vcc, v37, v20
	v_fma_f16 v18, v18, v39, -v33
	v_cndmask_b32_e64 v20, 0, 1, vcc
	v_add_u32_e32 v31, 0xfffffc10, v31
	v_cvt_f32_f16_e32 v18, v18
	v_or_b32_e32 v20, v38, v20
	v_lshl_or_b32 v37, v31, 12, v16
	v_cmp_gt_i32_e32 vcc, 1, v31
	v_cndmask_b32_e32 v20, v37, v20, vcc
	v_and_b32_e32 v37, 7, v20
	v_cmp_lt_i32_e32 vcc, 5, v37
	v_cmp_eq_u32_e64 s[0:1], 3, v37
	v_cvt_f64_f32_e32 v[37:38], v18
	v_lshrrev_b32_e32 v20, 2, v20
	s_or_b64 vcc, s[0:1], vcc
	v_addc_co_u32_e32 v18, vcc, 0, v20, vcc
	v_mul_f64 v[37:38], v[37:38], s[2:3]
	v_cmp_gt_i32_e32 vcc, 31, v31
	v_cndmask_b32_e32 v18, v32, v18, vcc
	v_cmp_ne_u32_e32 vcc, 0, v16
	v_cndmask_b32_e64 v16, 0, 1, vcc
	v_lshl_or_b32 v16, v16, 9, v32
	v_cmp_eq_u32_e32 vcc, s6, v31
	v_cndmask_b32_e32 v16, v18, v16, vcc
	v_lshrrev_b32_e32 v17, 16, v17
	v_and_or_b32 v18, v17, s7, v16
	v_and_or_b32 v16, v38, s4, v37
	v_cmp_ne_u32_e32 vcc, 0, v16
	v_cndmask_b32_e64 v16, 0, 1, vcc
	v_lshrrev_b32_e32 v17, 8, v38
	v_bfe_u32 v20, v38, 20, 11
	v_and_or_b32 v16, v17, s5, v16
	v_sub_u32_e32 v31, 0x3f1, v20
	v_or_b32_e32 v17, 0x1000, v16
	v_med3_i32 v31, v31, 0, 13
	v_lshrrev_b32_e32 v33, v31, v17
	v_lshlrev_b32_e32 v31, v31, v33
	v_cmp_ne_u32_e32 vcc, v31, v17
	v_cndmask_b32_e64 v17, 0, 1, vcc
	v_add_u32_e32 v20, 0xfffffc10, v20
	v_or_b32_e32 v17, v33, v17
	v_lshl_or_b32 v31, v20, 12, v16
	v_cmp_gt_i32_e32 vcc, 1, v20
	v_cndmask_b32_e32 v17, v31, v17, vcc
	v_and_b32_e32 v31, 7, v17
	v_lshrrev_b32_e32 v3, 16, v34
	v_cmp_lt_i32_e32 vcc, 5, v31
	v_cmp_eq_u32_e64 s[0:1], 3, v31
	v_lshrrev_b32_e32 v17, 2, v17
	s_or_b64 vcc, s[0:1], vcc
	v_mul_f16_e32 v31, v30, v3
	v_addc_co_u32_e32 v17, vcc, 0, v17, vcc
	v_fma_f16 v31, v19, v34, v31
	v_cmp_gt_i32_e32 vcc, 31, v20
	v_cvt_f32_f16_e32 v31, v31
	v_cndmask_b32_e32 v17, v32, v17, vcc
	v_cmp_ne_u32_e32 vcc, 0, v16
	v_cndmask_b32_e64 v16, 0, 1, vcc
	v_lshl_or_b32 v16, v16, 9, v32
	v_cmp_eq_u32_e32 vcc, s6, v20
	v_cndmask_b32_e32 v20, v17, v16, vcc
	v_cvt_f64_f32_e32 v[16:17], v31
	v_lshrrev_b32_e32 v33, 16, v38
	v_and_or_b32 v20, v33, s7, v20
	v_and_b32_e32 v18, 0xffff, v18
	v_mul_f64 v[16:17], v[16:17], s[2:3]
	s_lshl_b64 s[0:1], s[8:9], 3
	v_lshl_or_b32 v18, v20, 16, v18
	v_mov_b32_e32 v20, s1
	v_add_co_u32_e32 v37, vcc, s0, v1
	v_addc_co_u32_e32 v38, vcc, v2, v20, vcc
	v_and_or_b32 v16, v17, s4, v16
	v_cmp_ne_u32_e32 vcc, 0, v16
	global_store_dword v[37:38], v18, off
	v_cndmask_b32_e64 v16, 0, 1, vcc
	v_lshrrev_b32_e32 v18, 8, v17
	v_bfe_u32 v20, v17, 20, 11
	v_and_or_b32 v16, v18, s5, v16
	v_sub_u32_e32 v31, 0x3f1, v20
	v_or_b32_e32 v18, 0x1000, v16
	v_med3_i32 v31, v31, 0, 13
	v_lshrrev_b32_e32 v33, v31, v18
	v_mul_f16_e32 v30, v30, v34
	v_lshlrev_b32_e32 v31, v31, v33
	v_fma_f16 v3, v19, v3, -v30
	v_cmp_ne_u32_e32 vcc, v31, v18
	v_cvt_f32_f16_e32 v3, v3
	v_cndmask_b32_e64 v18, 0, 1, vcc
	v_add_u32_e32 v20, 0xfffffc10, v20
	v_or_b32_e32 v18, v33, v18
	v_lshl_or_b32 v31, v20, 12, v16
	v_cmp_gt_i32_e32 vcc, 1, v20
	v_cndmask_b32_e32 v18, v31, v18, vcc
	v_and_b32_e32 v31, 7, v18
	v_lshrrev_b32_e32 v30, 2, v18
	v_cvt_f64_f32_e32 v[18:19], v3
	v_cmp_lt_i32_e32 vcc, 5, v31
	v_cmp_eq_u32_e64 s[0:1], 3, v31
	s_or_b64 vcc, s[0:1], vcc
	v_mul_f64 v[18:19], v[18:19], s[2:3]
	v_addc_co_u32_e32 v3, vcc, 0, v30, vcc
	v_cmp_gt_i32_e32 vcc, 31, v20
	v_cndmask_b32_e32 v3, v32, v3, vcc
	v_cmp_ne_u32_e32 vcc, 0, v16
	v_cndmask_b32_e64 v16, 0, 1, vcc
	v_lshl_or_b32 v16, v16, 9, v32
	v_cmp_eq_u32_e32 vcc, s6, v20
	v_cndmask_b32_e32 v3, v3, v16, vcc
	v_lshrrev_b32_e32 v16, 16, v17
	v_and_or_b32 v20, v16, s7, v3
	v_and_or_b32 v3, v19, s4, v18
	v_cmp_ne_u32_e32 vcc, 0, v3
	v_cndmask_b32_e64 v3, 0, 1, vcc
	v_lshrrev_b32_e32 v16, 8, v19
	v_bfe_u32 v17, v19, 20, 11
	v_and_or_b32 v3, v16, s5, v3
	v_sub_u32_e32 v18, 0x3f1, v17
	v_or_b32_e32 v16, 0x1000, v3
	v_med3_i32 v18, v18, 0, 13
	v_lshrrev_b32_e32 v30, v18, v16
	v_lshlrev_b32_e32 v18, v18, v30
	v_cmp_ne_u32_e32 vcc, v18, v16
	v_cndmask_b32_e64 v16, 0, 1, vcc
	v_add_u32_e32 v18, 0xfffffc10, v17
	v_or_b32_e32 v16, v30, v16
	v_lshl_or_b32 v17, v18, 12, v3
	v_cmp_gt_i32_e32 vcc, 1, v18
	v_cndmask_b32_e32 v16, v17, v16, vcc
	v_and_b32_e32 v17, 7, v16
	v_cmp_lt_i32_e32 vcc, 5, v17
	v_cmp_eq_u32_e64 s[0:1], 3, v17
	v_lshrrev_b32_e32 v16, 2, v16
	s_or_b64 vcc, s[0:1], vcc
	v_addc_co_u32_e32 v16, vcc, 0, v16, vcc
	v_cmp_gt_i32_e32 vcc, 31, v18
	v_lshrrev_b32_e32 v34, 16, v35
	v_cndmask_b32_e32 v33, v32, v16, vcc
	v_mul_f16_sdwa v16, v12, v34 dst_sel:DWORD dst_unused:UNUSED_PAD src0_sel:WORD_1 src1_sel:DWORD
	v_fma_f16 v16, v12, v35, v16
	v_cvt_f32_f16_e32 v30, v16
	v_mad_u64_u32 v[16:17], s[0:1], s8, 12, v[1:2]
	v_cmp_ne_u32_e32 vcc, 0, v3
	v_cvt_f64_f32_e32 v[30:31], v30
	v_cndmask_b32_e64 v3, 0, 1, vcc
	v_cmp_eq_u32_e32 vcc, s6, v18
	v_lshrrev_b32_e32 v37, 16, v19
	v_mul_f64 v[18:19], v[30:31], s[2:3]
	v_lshl_or_b32 v3, v3, 9, v32
	v_cndmask_b32_e32 v33, v33, v3, vcc
	v_mov_b32_e32 v3, v17
	v_mad_u64_u32 v[30:31], s[0:1], s9, 12, v[3:4]
	v_and_or_b32 v3, v37, s7, v33
	v_and_b32_e32 v17, 0xffff, v20
	v_lshl_or_b32 v3, v3, 16, v17
	v_mov_b32_e32 v17, v30
	global_store_dword v[16:17], v3, off
	v_and_or_b32 v16, v19, s4, v18
	v_cmp_ne_u32_e32 vcc, 0, v16
	v_cndmask_b32_e64 v16, 0, 1, vcc
	v_lshrrev_b32_e32 v17, 8, v19
	v_and_or_b32 v18, v17, s5, v16
	v_bfe_u32 v17, v19, 20, 11
	v_sub_u32_e32 v20, 0x3f1, v17
	v_or_b32_e32 v16, 0x1000, v18
	v_med3_i32 v20, v20, 0, 13
	v_lshrrev_b32_e32 v30, v20, v16
	v_lshlrev_b32_e32 v20, v20, v30
	v_cmp_ne_u32_e32 vcc, v20, v16
	v_cndmask_b32_e64 v16, 0, 1, vcc
	v_or_b32_e32 v16, v30, v16
	v_mul_f16_sdwa v30, v12, v35 dst_sel:DWORD dst_unused:UNUSED_PAD src0_sel:WORD_1 src1_sel:DWORD
	v_fma_f16 v12, v12, v34, -v30
	v_add_u32_e32 v20, 0xfffffc10, v17
	v_cvt_f32_f16_e32 v12, v12
	v_lshl_or_b32 v17, v20, 12, v18
	v_cmp_gt_i32_e32 vcc, 1, v20
	v_cndmask_b32_e32 v16, v17, v16, vcc
	v_and_b32_e32 v17, 7, v16
	v_cmp_lt_i32_e32 vcc, 5, v17
	v_cmp_eq_u32_e64 s[0:1], 3, v17
	v_lshrrev_b32_e32 v30, 2, v16
	v_cvt_f64_f32_e32 v[16:17], v12
	s_or_b64 vcc, s[0:1], vcc
	v_addc_co_u32_e32 v12, vcc, 0, v30, vcc
	v_mul_f64 v[16:17], v[16:17], s[2:3]
	v_cmp_gt_i32_e32 vcc, 31, v20
	v_cndmask_b32_e32 v12, v32, v12, vcc
	v_cmp_ne_u32_e32 vcc, 0, v18
	v_cndmask_b32_e64 v18, 0, 1, vcc
	v_lshl_or_b32 v18, v18, 9, v32
	v_cmp_eq_u32_e32 vcc, s6, v20
	v_cndmask_b32_e32 v12, v12, v18, vcc
	v_and_or_b32 v16, v17, s4, v16
	v_lshrrev_b32_e32 v18, 16, v19
	v_cmp_ne_u32_e32 vcc, 0, v16
	v_and_or_b32 v12, v18, s7, v12
	v_cndmask_b32_e64 v16, 0, 1, vcc
	v_lshrrev_b32_e32 v18, 8, v17
	v_bfe_u32 v19, v17, 20, 11
	v_and_or_b32 v16, v18, s5, v16
	v_sub_u32_e32 v20, 0x3f1, v19
	v_or_b32_e32 v18, 0x1000, v16
	v_med3_i32 v20, v20, 0, 13
	v_lshrrev_b32_e32 v30, v20, v18
	v_lshlrev_b32_e32 v20, v20, v30
	v_cmp_ne_u32_e32 vcc, v20, v18
	v_cndmask_b32_e64 v18, 0, 1, vcc
	v_add_u32_e32 v19, 0xfffffc10, v19
	v_or_b32_e32 v18, v30, v18
	v_lshl_or_b32 v20, v19, 12, v16
	v_cmp_gt_i32_e32 vcc, 1, v19
	v_cndmask_b32_e32 v18, v20, v18, vcc
	v_and_b32_e32 v20, 7, v18
	v_lshrrev_b32_e32 v3, 16, v36
	v_cmp_lt_i32_e32 vcc, 5, v20
	v_cmp_eq_u32_e64 s[0:1], 3, v20
	v_lshrrev_b32_e32 v18, 2, v18
	s_or_b64 vcc, s[0:1], vcc
	v_mul_f16_e32 v20, v29, v3
	v_addc_co_u32_e32 v18, vcc, 0, v18, vcc
	v_fma_f16 v20, v13, v36, v20
	v_cmp_gt_i32_e32 vcc, 31, v19
	v_cvt_f32_f16_e32 v20, v20
	v_cndmask_b32_e32 v18, v32, v18, vcc
	v_cmp_ne_u32_e32 vcc, 0, v16
	v_cndmask_b32_e64 v16, 0, 1, vcc
	v_lshl_or_b32 v16, v16, 9, v32
	v_cmp_eq_u32_e32 vcc, s6, v19
	v_cndmask_b32_e32 v18, v18, v16, vcc
	v_lshrrev_b32_e32 v19, 16, v17
	v_cvt_f64_f32_e32 v[16:17], v20
	v_and_or_b32 v18, v19, s7, v18
	v_and_b32_e32 v12, 0xffff, v12
	s_lshl_b64 s[0:1], s[8:9], 4
	v_mul_f64 v[16:17], v[16:17], s[2:3]
	v_lshl_or_b32 v12, v18, 16, v12
	v_mov_b32_e32 v19, s1
	v_add_co_u32_e32 v18, vcc, s0, v1
	v_addc_co_u32_e32 v19, vcc, v2, v19, vcc
	global_store_dword v[18:19], v12, off
	v_and_or_b32 v12, v17, s4, v16
	v_cmp_ne_u32_e32 vcc, 0, v12
	v_cndmask_b32_e64 v12, 0, 1, vcc
	v_lshrrev_b32_e32 v16, 8, v17
	v_bfe_u32 v18, v17, 20, 11
	v_and_or_b32 v16, v16, s5, v12
	v_sub_u32_e32 v19, 0x3f1, v18
	v_or_b32_e32 v12, 0x1000, v16
	v_med3_i32 v19, v19, 0, 13
	v_lshrrev_b32_e32 v20, v19, v12
	v_lshlrev_b32_e32 v19, v19, v20
	v_cmp_ne_u32_e32 vcc, v19, v12
	v_cndmask_b32_e64 v12, 0, 1, vcc
	v_or_b32_e32 v12, v20, v12
	v_mul_f16_e32 v20, v29, v36
	v_fma_f16 v3, v13, v3, -v20
	v_add_u32_e32 v18, 0xfffffc10, v18
	v_cvt_f32_f16_e32 v3, v3
	v_lshl_or_b32 v19, v18, 12, v16
	v_cmp_gt_i32_e32 vcc, 1, v18
	v_cndmask_b32_e32 v12, v19, v12, vcc
	v_and_b32_e32 v19, 7, v12
	v_cmp_lt_i32_e32 vcc, 5, v19
	v_cmp_eq_u32_e64 s[0:1], 3, v19
	v_lshrrev_b32_e32 v19, 2, v12
	v_cvt_f64_f32_e32 v[12:13], v3
	s_or_b64 vcc, s[0:1], vcc
	v_addc_co_u32_e32 v3, vcc, 0, v19, vcc
	v_mul_f64 v[12:13], v[12:13], s[2:3]
	v_cmp_gt_i32_e32 vcc, 31, v18
	v_cndmask_b32_e32 v3, v32, v3, vcc
	v_cmp_ne_u32_e32 vcc, 0, v16
	v_cndmask_b32_e64 v16, 0, 1, vcc
	v_lshl_or_b32 v16, v16, 9, v32
	v_cmp_eq_u32_e32 vcc, s6, v18
	v_cndmask_b32_e32 v3, v3, v16, vcc
	v_lshrrev_b32_e32 v16, 16, v17
	v_and_or_b32 v20, v16, s7, v3
	v_and_or_b32 v3, v13, s4, v12
	v_cmp_ne_u32_e32 vcc, 0, v3
	v_cndmask_b32_e64 v3, 0, 1, vcc
	v_lshrrev_b32_e32 v12, 8, v13
	v_bfe_u32 v16, v13, 20, 11
	v_and_or_b32 v3, v12, s5, v3
	v_sub_u32_e32 v17, 0x3f1, v16
	v_or_b32_e32 v12, 0x1000, v3
	v_med3_i32 v17, v17, 0, 13
	v_lshrrev_b32_e32 v18, v17, v12
	v_lshlrev_b32_e32 v17, v17, v18
	v_cmp_ne_u32_e32 vcc, v17, v12
	v_cndmask_b32_e64 v12, 0, 1, vcc
	v_add_u32_e32 v29, 0xfffffc10, v16
	v_or_b32_e32 v12, v18, v12
	v_lshl_or_b32 v16, v29, 12, v3
	v_cmp_gt_i32_e32 vcc, 1, v29
	v_cndmask_b32_e32 v12, v16, v12, vcc
	v_and_b32_e32 v16, 7, v12
	v_lshrrev_b32_e32 v30, 16, v21
	v_cmp_lt_i32_e32 vcc, 5, v16
	v_cmp_eq_u32_e64 s[0:1], 3, v16
	v_mul_f16_sdwa v16, v14, v30 dst_sel:DWORD dst_unused:UNUSED_PAD src0_sel:WORD_1 src1_sel:DWORD
	v_fma_f16 v16, v14, v21, v16
	v_cvt_f32_f16_e32 v18, v16
	v_lshrrev_b32_e32 v12, 2, v12
	s_or_b64 vcc, s[0:1], vcc
	v_addc_co_u32_e32 v12, vcc, 0, v12, vcc
	v_cmp_gt_i32_e32 vcc, 31, v29
	v_cvt_f64_f32_e32 v[18:19], v18
	v_cndmask_b32_e32 v12, v32, v12, vcc
	v_cmp_ne_u32_e32 vcc, 0, v3
	v_cndmask_b32_e64 v3, 0, 1, vcc
	v_lshl_or_b32 v3, v3, 9, v32
	v_mad_u64_u32 v[16:17], s[0:1], s8, 20, v[1:2]
	v_cmp_eq_u32_e32 vcc, s6, v29
	v_cndmask_b32_e32 v29, v12, v3, vcc
	v_lshrrev_b32_e32 v31, 16, v13
	v_mul_f64 v[12:13], v[18:19], s[2:3]
	v_mov_b32_e32 v3, v17
	v_mad_u64_u32 v[17:18], s[0:1], s9, 20, v[3:4]
	v_and_or_b32 v3, v31, s7, v29
	v_and_b32_e32 v18, 0xffff, v20
	v_lshl_or_b32 v3, v3, 16, v18
	global_store_dword v[16:17], v3, off
	v_and_or_b32 v3, v13, s4, v12
	v_cmp_ne_u32_e32 vcc, 0, v3
	v_cndmask_b32_e64 v3, 0, 1, vcc
	v_lshrrev_b32_e32 v12, 8, v13
	v_bfe_u32 v16, v13, 20, 11
	v_and_or_b32 v3, v12, s5, v3
	v_sub_u32_e32 v17, 0x3f1, v16
	v_or_b32_e32 v12, 0x1000, v3
	v_med3_i32 v17, v17, 0, 13
	v_lshrrev_b32_e32 v18, v17, v12
	v_lshlrev_b32_e32 v17, v17, v18
	v_cmp_ne_u32_e32 vcc, v17, v12
	v_mul_f16_sdwa v17, v14, v21 dst_sel:DWORD dst_unused:UNUSED_PAD src0_sel:WORD_1 src1_sel:DWORD
	v_cndmask_b32_e64 v12, 0, 1, vcc
	v_fma_f16 v14, v14, v30, -v17
	v_or_b32_e32 v12, v18, v12
	v_add_u32_e32 v18, 0xfffffc10, v16
	v_cvt_f32_f16_e32 v14, v14
	v_lshl_or_b32 v16, v18, 12, v3
	v_cmp_gt_i32_e32 vcc, 1, v18
	v_cndmask_b32_e32 v12, v16, v12, vcc
	v_and_b32_e32 v16, 7, v12
	v_cmp_lt_i32_e32 vcc, 5, v16
	v_cmp_eq_u32_e64 s[0:1], 3, v16
	v_cvt_f64_f32_e32 v[16:17], v14
	v_lshrrev_b32_e32 v12, 2, v12
	s_or_b64 vcc, s[0:1], vcc
	v_addc_co_u32_e32 v12, vcc, 0, v12, vcc
	v_mul_f64 v[16:17], v[16:17], s[2:3]
	v_cmp_gt_i32_e32 vcc, 31, v18
	v_cndmask_b32_e32 v12, v32, v12, vcc
	v_cmp_ne_u32_e32 vcc, 0, v3
	v_cndmask_b32_e64 v3, 0, 1, vcc
	v_lshl_or_b32 v3, v3, 9, v32
	v_cmp_eq_u32_e32 vcc, s6, v18
	v_cndmask_b32_e32 v3, v12, v3, vcc
	v_lshrrev_b32_e32 v12, 16, v13
	v_and_or_b32 v21, v12, s7, v3
	v_and_or_b32 v3, v17, s4, v16
	v_cmp_ne_u32_e32 vcc, 0, v3
	v_cndmask_b32_e64 v3, 0, 1, vcc
	v_lshrrev_b32_e32 v12, 8, v17
	v_bfe_u32 v13, v17, 20, 11
	v_and_or_b32 v3, v12, s5, v3
	v_sub_u32_e32 v14, 0x3f1, v13
	v_or_b32_e32 v12, 0x1000, v3
	v_med3_i32 v14, v14, 0, 13
	v_lshrrev_b32_e32 v16, v14, v12
	v_lshlrev_b32_e32 v14, v14, v16
	v_cmp_ne_u32_e32 vcc, v14, v12
	v_cndmask_b32_e64 v12, 0, 1, vcc
	v_add_u32_e32 v14, 0xfffffc10, v13
	v_or_b32_e32 v12, v16, v12
	v_lshl_or_b32 v13, v14, 12, v3
	v_cmp_gt_i32_e32 vcc, 1, v14
	v_cndmask_b32_e32 v12, v13, v12, vcc
	v_and_b32_e32 v13, 7, v12
	v_cmp_lt_i32_e32 vcc, 5, v13
	v_cmp_eq_u32_e64 s[0:1], 3, v13
	v_lshrrev_b32_e32 v12, 2, v12
	s_or_b64 vcc, s[0:1], vcc
	v_addc_co_u32_e32 v12, vcc, 0, v12, vcc
	v_lshrrev_b32_e32 v20, 16, v22
	v_cmp_gt_i32_e32 vcc, 31, v14
	v_cndmask_b32_e32 v16, v32, v12, vcc
	v_mul_f16_e32 v12, v28, v20
	v_fma_f16 v12, v15, v22, v12
	v_cvt_f32_f16_e32 v18, v12
	v_cmp_ne_u32_e32 vcc, 0, v3
	v_cndmask_b32_e64 v3, 0, 1, vcc
	v_lshl_or_b32 v3, v3, 9, v32
	v_cvt_f64_f32_e32 v[18:19], v18
	v_mad_u64_u32 v[12:13], s[0:1], s8, 24, v[1:2]
	v_cmp_eq_u32_e32 vcc, s6, v14
	v_cndmask_b32_e32 v29, v16, v3, vcc
	v_lshrrev_b32_e32 v30, 16, v17
	v_mul_f64 v[16:17], v[18:19], s[2:3]
	v_mov_b32_e32 v3, v13
	v_mad_u64_u32 v[13:14], s[0:1], s9, 24, v[3:4]
	v_and_or_b32 v3, v30, s7, v29
	v_and_b32_e32 v14, 0xffff, v21
	v_lshl_or_b32 v3, v3, 16, v14
	global_store_dword v[12:13], v3, off
	v_and_or_b32 v3, v17, s4, v16
	v_cmp_ne_u32_e32 vcc, 0, v3
	v_cndmask_b32_e64 v3, 0, 1, vcc
	v_lshrrev_b32_e32 v12, 8, v17
	v_bfe_u32 v13, v17, 20, 11
	v_and_or_b32 v3, v12, s5, v3
	v_sub_u32_e32 v14, 0x3f1, v13
	v_or_b32_e32 v12, 0x1000, v3
	v_med3_i32 v14, v14, 0, 13
	v_lshrrev_b32_e32 v16, v14, v12
	v_lshlrev_b32_e32 v14, v14, v16
	v_cmp_ne_u32_e32 vcc, v14, v12
	v_cndmask_b32_e64 v12, 0, 1, vcc
	v_or_b32_e32 v12, v16, v12
	v_mul_f16_e32 v16, v28, v22
	v_fma_f16 v15, v15, v20, -v16
	v_add_u32_e32 v14, 0xfffffc10, v13
	v_cvt_f32_f16_e32 v15, v15
	v_lshl_or_b32 v13, v14, 12, v3
	v_cmp_gt_i32_e32 vcc, 1, v14
	v_cndmask_b32_e32 v12, v13, v12, vcc
	v_and_b32_e32 v13, 7, v12
	v_cmp_lt_i32_e32 vcc, 5, v13
	v_cmp_eq_u32_e64 s[0:1], 3, v13
	v_lshrrev_b32_e32 v16, 2, v12
	v_cvt_f64_f32_e32 v[12:13], v15
	s_or_b64 vcc, s[0:1], vcc
	v_addc_co_u32_e32 v15, vcc, 0, v16, vcc
	v_mul_f64 v[19:20], v[12:13], s[2:3]
	v_cmp_gt_i32_e32 vcc, 31, v14
	v_cndmask_b32_e32 v15, v32, v15, vcc
	v_cmp_ne_u32_e32 vcc, 0, v3
	v_cndmask_b32_e64 v3, 0, 1, vcc
	v_lshl_or_b32 v3, v3, 9, v32
	v_cmp_eq_u32_e32 vcc, s6, v14
	v_cndmask_b32_e32 v3, v15, v3, vcc
	v_lshrrev_b32_e32 v12, 16, v17
	v_and_or_b32 v3, v12, s7, v3
	v_and_or_b32 v12, v20, s4, v19
	v_cmp_ne_u32_e32 vcc, 0, v12
	v_cndmask_b32_e64 v12, 0, 1, vcc
	v_lshrrev_b32_e32 v13, 8, v20
	v_bfe_u32 v14, v20, 20, 11
	v_and_or_b32 v12, v13, s5, v12
	v_sub_u32_e32 v15, 0x3f1, v14
	v_or_b32_e32 v13, 0x1000, v12
	v_med3_i32 v15, v15, 0, 13
	v_lshrrev_b32_e32 v16, v15, v13
	v_lshlrev_b32_e32 v15, v15, v16
	v_cmp_ne_u32_e32 vcc, v15, v13
	v_cndmask_b32_e64 v13, 0, 1, vcc
	v_add_u32_e32 v21, 0xfffffc10, v14
	v_or_b32_e32 v13, v16, v13
	v_lshl_or_b32 v14, v21, 12, v12
	v_cmp_gt_i32_e32 vcc, 1, v21
	v_cndmask_b32_e32 v13, v14, v13, vcc
	v_and_b32_e32 v14, 7, v13
	v_cmp_lt_i32_e32 vcc, 5, v14
	v_cmp_eq_u32_e64 s[0:1], 3, v14
	ds_read2_b32 v[14:15], v23 offset0:8 offset1:9
	v_lshrrev_b32_e32 v13, 2, v13
	s_or_b64 vcc, s[0:1], vcc
	v_addc_co_u32_e32 v13, vcc, 0, v13, vcc
	s_waitcnt lgkmcnt(0)
	v_lshrrev_b32_e32 v33, 16, v14
	v_mul_f16_sdwa v29, v8, v33 dst_sel:DWORD dst_unused:UNUSED_PAD src0_sel:WORD_1 src1_sel:DWORD
	v_fma_f16 v29, v8, v14, v29
	v_cvt_f32_f16_e32 v30, v29
	v_cmp_gt_i32_e32 vcc, 31, v21
	v_cndmask_b32_e32 v22, v32, v13, vcc
	v_cmp_ne_u32_e32 vcc, 0, v12
	v_cvt_f64_f32_e32 v[30:31], v30
	v_cndmask_b32_e64 v28, 0, 1, vcc
	v_lshl_or_b32 v34, v28, 9, v32
	v_cmp_eq_u32_e32 vcc, s6, v21
	v_cndmask_b32_e32 v34, v22, v34, vcc
	v_mul_f64 v[21:22], v[30:31], s[2:3]
	v_mad_u64_u32 v[28:29], s[0:1], s8, 28, v[1:2]
	v_lshrrev_b32_e32 v35, 16, v20
	v_and_b32_e32 v3, 0xffff, v3
	v_mov_b32_e32 v20, v29
	ds_read2_b32 v[16:17], v23 offset0:10 offset1:11
	ds_read2_b32 v[18:19], v23 offset0:12 offset1:13
	;; [unrolled: 1-line block ×3, first 2 shown]
	v_mul_f16_sdwa v14, v8, v14 dst_sel:DWORD dst_unused:UNUSED_PAD src0_sel:WORD_1 src1_sel:DWORD
	v_mad_u64_u32 v[29:30], s[0:1], s9, 28, v[20:21]
	v_and_or_b32 v20, v35, s7, v34
	v_lshl_or_b32 v3, v20, 16, v3
	v_and_or_b32 v20, v22, s4, v21
	v_cmp_ne_u32_e32 vcc, 0, v20
	v_cndmask_b32_e64 v20, 0, 1, vcc
	v_lshrrev_b32_e32 v21, 8, v22
	global_store_dword v[28:29], v3, off
	v_and_or_b32 v28, v21, s5, v20
	v_bfe_u32 v21, v22, 20, 11
	v_sub_u32_e32 v29, 0x3f1, v21
	v_or_b32_e32 v20, 0x1000, v28
	v_med3_i32 v29, v29, 0, 13
	v_lshrrev_b32_e32 v30, v29, v20
	v_lshlrev_b32_e32 v29, v29, v30
	v_cmp_ne_u32_e32 vcc, v29, v20
	v_fma_f16 v8, v8, v33, -v14
	v_cndmask_b32_e64 v20, 0, 1, vcc
	v_add_u32_e32 v29, 0xfffffc10, v21
	v_cvt_f32_f16_e32 v8, v8
	v_or_b32_e32 v20, v30, v20
	v_lshl_or_b32 v21, v29, 12, v28
	v_cmp_gt_i32_e32 vcc, 1, v29
	v_cndmask_b32_e32 v20, v21, v20, vcc
	v_and_b32_e32 v21, 7, v20
	v_cmp_lt_i32_e32 vcc, 5, v21
	v_cmp_eq_u32_e64 s[0:1], 3, v21
	v_lshrrev_b32_e32 v14, 2, v20
	v_cvt_f64_f32_e32 v[20:21], v8
	s_or_b64 vcc, s[0:1], vcc
	v_addc_co_u32_e32 v8, vcc, 0, v14, vcc
	v_mul_f64 v[20:21], v[20:21], s[2:3]
	v_cmp_gt_i32_e32 vcc, 31, v29
	v_cndmask_b32_e32 v8, v32, v8, vcc
	v_cmp_ne_u32_e32 vcc, 0, v28
	v_cndmask_b32_e64 v14, 0, 1, vcc
	v_lshl_or_b32 v14, v14, 9, v32
	v_cmp_eq_u32_e32 vcc, s6, v29
	v_cndmask_b32_e32 v8, v8, v14, vcc
	v_lshrrev_b32_e32 v14, 16, v22
	v_and_or_b32 v8, v14, s7, v8
	v_and_or_b32 v14, v21, s4, v20
	v_cmp_ne_u32_e32 vcc, 0, v14
	v_cndmask_b32_e64 v14, 0, 1, vcc
	v_lshrrev_b32_e32 v20, 8, v21
	v_bfe_u32 v22, v21, 20, 11
	v_and_or_b32 v14, v20, s5, v14
	v_sub_u32_e32 v28, 0x3f1, v22
	v_or_b32_e32 v20, 0x1000, v14
	v_med3_i32 v28, v28, 0, 13
	v_lshrrev_b32_e32 v29, v28, v20
	v_lshlrev_b32_e32 v28, v28, v29
	v_cmp_ne_u32_e32 vcc, v28, v20
	v_cndmask_b32_e64 v20, 0, 1, vcc
	v_add_u32_e32 v22, 0xfffffc10, v22
	v_or_b32_e32 v20, v29, v20
	v_lshl_or_b32 v28, v22, 12, v14
	v_cmp_gt_i32_e32 vcc, 1, v22
	v_cndmask_b32_e32 v20, v28, v20, vcc
	v_and_b32_e32 v28, 7, v20
	v_lshrrev_b32_e32 v3, 16, v15
	v_cmp_lt_i32_e32 vcc, 5, v28
	v_cmp_eq_u32_e64 s[0:1], 3, v28
	v_lshrrev_b32_e32 v20, 2, v20
	s_or_b64 vcc, s[0:1], vcc
	v_mul_f16_e32 v28, v27, v3
	v_addc_co_u32_e32 v20, vcc, 0, v20, vcc
	v_fma_f16 v28, v9, v15, v28
	v_cmp_gt_i32_e32 vcc, 31, v22
	v_cvt_f32_f16_e32 v28, v28
	v_cndmask_b32_e32 v20, v32, v20, vcc
	v_cmp_ne_u32_e32 vcc, 0, v14
	v_cndmask_b32_e64 v14, 0, 1, vcc
	v_lshl_or_b32 v14, v14, 9, v32
	v_cmp_eq_u32_e32 vcc, s6, v22
	v_cndmask_b32_e32 v14, v20, v14, vcc
	v_lshrrev_b32_e32 v22, 16, v21
	v_cvt_f64_f32_e32 v[20:21], v28
	v_and_or_b32 v14, v22, s7, v14
	v_and_b32_e32 v8, 0xffff, v8
	s_lshl_b64 s[0:1], s[8:9], 5
	v_mul_f64 v[20:21], v[20:21], s[2:3]
	v_lshl_or_b32 v8, v14, 16, v8
	v_mov_b32_e32 v14, s1
	v_add_co_u32_e32 v28, vcc, s0, v1
	v_addc_co_u32_e32 v29, vcc, v2, v14, vcc
	global_store_dword v[28:29], v8, off
	v_and_or_b32 v8, v21, s4, v20
	v_cmp_ne_u32_e32 vcc, 0, v8
	v_cndmask_b32_e64 v8, 0, 1, vcc
	v_lshrrev_b32_e32 v14, 8, v21
	v_bfe_u32 v20, v21, 20, 11
	v_and_or_b32 v14, v14, s5, v8
	v_sub_u32_e32 v22, 0x3f1, v20
	v_or_b32_e32 v8, 0x1000, v14
	v_med3_i32 v22, v22, 0, 13
	v_lshrrev_b32_e32 v28, v22, v8
	v_mul_f16_e32 v15, v27, v15
	v_lshlrev_b32_e32 v22, v22, v28
	v_fma_f16 v3, v9, v3, -v15
	v_cmp_ne_u32_e32 vcc, v22, v8
	v_cvt_f32_f16_e32 v3, v3
	v_cndmask_b32_e64 v8, 0, 1, vcc
	v_add_u32_e32 v20, 0xfffffc10, v20
	v_or_b32_e32 v8, v28, v8
	v_lshl_or_b32 v22, v20, 12, v14
	v_cmp_gt_i32_e32 vcc, 1, v20
	v_cndmask_b32_e32 v8, v22, v8, vcc
	v_and_b32_e32 v22, 7, v8
	v_lshrrev_b32_e32 v15, 2, v8
	v_cvt_f64_f32_e32 v[8:9], v3
	v_cmp_lt_i32_e32 vcc, 5, v22
	v_cmp_eq_u32_e64 s[0:1], 3, v22
	s_or_b64 vcc, s[0:1], vcc
	v_mul_f64 v[8:9], v[8:9], s[2:3]
	v_addc_co_u32_e32 v3, vcc, 0, v15, vcc
	v_cmp_gt_i32_e32 vcc, 31, v20
	v_cndmask_b32_e32 v3, v32, v3, vcc
	v_cmp_ne_u32_e32 vcc, 0, v14
	v_cndmask_b32_e64 v14, 0, 1, vcc
	v_lshl_or_b32 v14, v14, 9, v32
	v_cmp_eq_u32_e32 vcc, s6, v20
	v_cndmask_b32_e32 v3, v3, v14, vcc
	v_lshrrev_b32_e32 v14, 16, v21
	v_and_or_b32 v22, v14, s7, v3
	v_and_or_b32 v3, v9, s4, v8
	v_cmp_ne_u32_e32 vcc, 0, v3
	v_cndmask_b32_e64 v3, 0, 1, vcc
	v_lshrrev_b32_e32 v8, 8, v9
	v_bfe_u32 v14, v9, 20, 11
	v_and_or_b32 v3, v8, s5, v3
	v_sub_u32_e32 v15, 0x3f1, v14
	v_or_b32_e32 v8, 0x1000, v3
	v_med3_i32 v15, v15, 0, 13
	v_lshrrev_b32_e32 v20, v15, v8
	v_lshlrev_b32_e32 v15, v15, v20
	v_cmp_ne_u32_e32 vcc, v15, v8
	v_cndmask_b32_e64 v8, 0, 1, vcc
	v_add_u32_e32 v27, 0xfffffc10, v14
	v_or_b32_e32 v8, v20, v8
	v_lshl_or_b32 v14, v27, 12, v3
	v_cmp_gt_i32_e32 vcc, 1, v27
	v_cndmask_b32_e32 v8, v14, v8, vcc
	v_and_b32_e32 v14, 7, v8
	s_waitcnt lgkmcnt(2)
	v_lshrrev_b32_e32 v28, 16, v16
	v_cmp_lt_i32_e32 vcc, 5, v14
	v_cmp_eq_u32_e64 s[0:1], 3, v14
	v_mul_f16_sdwa v14, v10, v28 dst_sel:DWORD dst_unused:UNUSED_PAD src0_sel:WORD_1 src1_sel:DWORD
	v_fma_f16 v14, v10, v16, v14
	v_cvt_f32_f16_e32 v20, v14
	v_lshrrev_b32_e32 v8, 2, v8
	s_or_b64 vcc, s[0:1], vcc
	v_addc_co_u32_e32 v8, vcc, 0, v8, vcc
	v_cmp_gt_i32_e32 vcc, 31, v27
	v_cvt_f64_f32_e32 v[20:21], v20
	v_cndmask_b32_e32 v8, v32, v8, vcc
	v_cmp_ne_u32_e32 vcc, 0, v3
	v_cndmask_b32_e64 v3, 0, 1, vcc
	v_mad_u64_u32 v[14:15], s[0:1], s8, 36, v[1:2]
	v_lshl_or_b32 v3, v3, 9, v32
	v_cmp_eq_u32_e32 vcc, s6, v27
	v_cndmask_b32_e32 v27, v8, v3, vcc
	v_lshrrev_b32_e32 v29, 16, v9
	v_mul_f64 v[8:9], v[20:21], s[2:3]
	v_mov_b32_e32 v3, v15
	v_mad_u64_u32 v[20:21], s[0:1], s9, 36, v[3:4]
	v_and_or_b32 v3, v29, s7, v27
	v_and_b32_e32 v15, 0xffff, v22
	v_lshl_or_b32 v3, v3, 16, v15
	v_mov_b32_e32 v15, v20
	global_store_dword v[14:15], v3, off
	v_and_or_b32 v3, v9, s4, v8
	v_cmp_ne_u32_e32 vcc, 0, v3
	v_cndmask_b32_e64 v3, 0, 1, vcc
	v_lshrrev_b32_e32 v8, 8, v9
	v_bfe_u32 v14, v9, 20, 11
	v_and_or_b32 v3, v8, s5, v3
	v_sub_u32_e32 v15, 0x3f1, v14
	v_or_b32_e32 v8, 0x1000, v3
	v_med3_i32 v15, v15, 0, 13
	v_lshrrev_b32_e32 v20, v15, v8
	v_lshlrev_b32_e32 v15, v15, v20
	v_cmp_ne_u32_e32 vcc, v15, v8
	v_mul_f16_sdwa v15, v10, v16 dst_sel:DWORD dst_unused:UNUSED_PAD src0_sel:WORD_1 src1_sel:DWORD
	v_cndmask_b32_e64 v8, 0, 1, vcc
	v_fma_f16 v10, v10, v28, -v15
	v_or_b32_e32 v8, v20, v8
	v_add_u32_e32 v20, 0xfffffc10, v14
	v_cvt_f32_f16_e32 v10, v10
	v_lshl_or_b32 v14, v20, 12, v3
	v_cmp_gt_i32_e32 vcc, 1, v20
	v_cndmask_b32_e32 v8, v14, v8, vcc
	v_and_b32_e32 v14, 7, v8
	v_cmp_lt_i32_e32 vcc, 5, v14
	v_cmp_eq_u32_e64 s[0:1], 3, v14
	v_cvt_f64_f32_e32 v[14:15], v10
	v_lshrrev_b32_e32 v8, 2, v8
	s_or_b64 vcc, s[0:1], vcc
	v_addc_co_u32_e32 v8, vcc, 0, v8, vcc
	v_mul_f64 v[14:15], v[14:15], s[2:3]
	v_cmp_gt_i32_e32 vcc, 31, v20
	v_cndmask_b32_e32 v8, v32, v8, vcc
	v_cmp_ne_u32_e32 vcc, 0, v3
	v_cndmask_b32_e64 v3, 0, 1, vcc
	v_lshl_or_b32 v3, v3, 9, v32
	v_cmp_eq_u32_e32 vcc, s6, v20
	v_cndmask_b32_e32 v3, v8, v3, vcc
	v_lshrrev_b32_e32 v8, 16, v9
	v_and_or_b32 v16, v8, s7, v3
	v_and_or_b32 v3, v15, s4, v14
	v_cmp_ne_u32_e32 vcc, 0, v3
	v_cndmask_b32_e64 v3, 0, 1, vcc
	v_lshrrev_b32_e32 v8, 8, v15
	v_bfe_u32 v9, v15, 20, 11
	v_and_or_b32 v3, v8, s5, v3
	v_sub_u32_e32 v10, 0x3f1, v9
	v_or_b32_e32 v8, 0x1000, v3
	v_med3_i32 v10, v10, 0, 13
	v_lshrrev_b32_e32 v14, v10, v8
	v_lshlrev_b32_e32 v10, v10, v14
	v_cmp_ne_u32_e32 vcc, v10, v8
	v_cndmask_b32_e64 v8, 0, 1, vcc
	v_add_u32_e32 v10, 0xfffffc10, v9
	v_or_b32_e32 v8, v14, v8
	v_lshl_or_b32 v9, v10, 12, v3
	v_cmp_gt_i32_e32 vcc, 1, v10
	v_cndmask_b32_e32 v8, v9, v8, vcc
	v_and_b32_e32 v9, 7, v8
	v_cmp_lt_i32_e32 vcc, 5, v9
	v_cmp_eq_u32_e64 s[0:1], 3, v9
	v_lshrrev_b32_e32 v8, 2, v8
	s_or_b64 vcc, s[0:1], vcc
	v_addc_co_u32_e32 v8, vcc, 0, v8, vcc
	v_lshrrev_b32_e32 v22, 16, v17
	v_cmp_gt_i32_e32 vcc, 31, v10
	v_cndmask_b32_e32 v14, v32, v8, vcc
	v_mul_f16_e32 v8, v26, v22
	v_fma_f16 v8, v11, v17, v8
	v_cvt_f32_f16_e32 v20, v8
	v_cmp_ne_u32_e32 vcc, 0, v3
	v_cndmask_b32_e64 v3, 0, 1, vcc
	v_lshl_or_b32 v3, v3, 9, v32
	v_cvt_f64_f32_e32 v[20:21], v20
	v_mad_u64_u32 v[8:9], s[0:1], s8, 40, v[1:2]
	v_cmp_eq_u32_e32 vcc, s6, v10
	v_cndmask_b32_e32 v27, v14, v3, vcc
	v_lshrrev_b32_e32 v28, 16, v15
	v_mul_f64 v[14:15], v[20:21], s[2:3]
	v_mov_b32_e32 v3, v9
	v_mad_u64_u32 v[9:10], s[0:1], s9, 40, v[3:4]
	v_and_or_b32 v3, v28, s7, v27
	v_and_b32_e32 v10, 0xffff, v16
	v_lshl_or_b32 v3, v3, 16, v10
	global_store_dword v[8:9], v3, off
	v_and_or_b32 v3, v15, s4, v14
	v_cmp_ne_u32_e32 vcc, 0, v3
	v_cndmask_b32_e64 v3, 0, 1, vcc
	v_lshrrev_b32_e32 v8, 8, v15
	v_bfe_u32 v9, v15, 20, 11
	v_and_or_b32 v3, v8, s5, v3
	v_sub_u32_e32 v10, 0x3f1, v9
	v_or_b32_e32 v8, 0x1000, v3
	v_med3_i32 v10, v10, 0, 13
	v_lshrrev_b32_e32 v14, v10, v8
	v_lshlrev_b32_e32 v10, v10, v14
	v_cmp_ne_u32_e32 vcc, v10, v8
	v_cndmask_b32_e64 v8, 0, 1, vcc
	v_or_b32_e32 v8, v14, v8
	v_mul_f16_e32 v14, v26, v17
	v_fma_f16 v11, v11, v22, -v14
	v_add_u32_e32 v10, 0xfffffc10, v9
	v_cvt_f32_f16_e32 v11, v11
	v_lshl_or_b32 v9, v10, 12, v3
	v_cmp_gt_i32_e32 vcc, 1, v10
	v_cndmask_b32_e32 v8, v9, v8, vcc
	v_and_b32_e32 v9, 7, v8
	v_cmp_lt_i32_e32 vcc, 5, v9
	v_cmp_eq_u32_e64 s[0:1], 3, v9
	v_lshrrev_b32_e32 v14, 2, v8
	v_cvt_f64_f32_e32 v[8:9], v11
	s_or_b64 vcc, s[0:1], vcc
	v_addc_co_u32_e32 v11, vcc, 0, v14, vcc
	v_mul_f64 v[8:9], v[8:9], s[2:3]
	v_cmp_gt_i32_e32 vcc, 31, v10
	v_cndmask_b32_e32 v11, v32, v11, vcc
	v_cmp_ne_u32_e32 vcc, 0, v3
	v_cndmask_b32_e64 v3, 0, 1, vcc
	v_lshl_or_b32 v3, v3, 9, v32
	v_cmp_eq_u32_e32 vcc, s6, v10
	v_cndmask_b32_e32 v3, v11, v3, vcc
	v_lshrrev_b32_e32 v10, 16, v15
	v_and_or_b32 v16, v10, s7, v3
	v_and_or_b32 v3, v9, s4, v8
	v_cmp_ne_u32_e32 vcc, 0, v3
	v_cndmask_b32_e64 v3, 0, 1, vcc
	v_lshrrev_b32_e32 v8, 8, v9
	v_bfe_u32 v10, v9, 20, 11
	v_and_or_b32 v3, v8, s5, v3
	v_sub_u32_e32 v11, 0x3f1, v10
	v_or_b32_e32 v8, 0x1000, v3
	v_med3_i32 v11, v11, 0, 13
	v_lshrrev_b32_e32 v14, v11, v8
	v_lshlrev_b32_e32 v11, v11, v14
	v_cmp_ne_u32_e32 vcc, v11, v8
	v_cndmask_b32_e64 v8, 0, 1, vcc
	v_add_u32_e32 v17, 0xfffffc10, v10
	v_or_b32_e32 v8, v14, v8
	v_lshl_or_b32 v10, v17, 12, v3
	v_cmp_gt_i32_e32 vcc, 1, v17
	v_cndmask_b32_e32 v8, v10, v8, vcc
	v_and_b32_e32 v10, 7, v8
	s_waitcnt lgkmcnt(1)
	v_lshrrev_b32_e32 v20, 16, v18
	v_cmp_lt_i32_e32 vcc, 5, v10
	v_cmp_eq_u32_e64 s[0:1], 3, v10
	v_mul_f16_sdwa v10, v4, v20 dst_sel:DWORD dst_unused:UNUSED_PAD src0_sel:WORD_1 src1_sel:DWORD
	v_fma_f16 v10, v4, v18, v10
	v_cvt_f32_f16_e32 v14, v10
	v_lshrrev_b32_e32 v8, 2, v8
	s_or_b64 vcc, s[0:1], vcc
	v_addc_co_u32_e32 v8, vcc, 0, v8, vcc
	v_cmp_gt_i32_e32 vcc, 31, v17
	v_cvt_f64_f32_e32 v[14:15], v14
	v_cndmask_b32_e32 v8, v32, v8, vcc
	v_cmp_ne_u32_e32 vcc, 0, v3
	v_cndmask_b32_e64 v3, 0, 1, vcc
	v_mad_u64_u32 v[10:11], s[0:1], s8, 44, v[1:2]
	v_lshl_or_b32 v3, v3, 9, v32
	v_cmp_eq_u32_e32 vcc, s6, v17
	v_cndmask_b32_e32 v17, v8, v3, vcc
	v_lshrrev_b32_e32 v21, 16, v9
	v_mul_f64 v[8:9], v[14:15], s[2:3]
	v_mov_b32_e32 v3, v11
	v_mad_u64_u32 v[14:15], s[0:1], s9, 44, v[3:4]
	v_and_or_b32 v3, v21, s7, v17
	v_and_b32_e32 v11, 0xffff, v16
	v_lshl_or_b32 v3, v3, 16, v11
	v_mov_b32_e32 v11, v14
	global_store_dword v[10:11], v3, off
	v_and_or_b32 v3, v9, s4, v8
	v_cmp_ne_u32_e32 vcc, 0, v3
	v_cndmask_b32_e64 v3, 0, 1, vcc
	v_lshrrev_b32_e32 v8, 8, v9
	v_bfe_u32 v10, v9, 20, 11
	v_and_or_b32 v8, v8, s5, v3
	v_sub_u32_e32 v11, 0x3f1, v10
	v_or_b32_e32 v3, 0x1000, v8
	v_med3_i32 v11, v11, 0, 13
	v_lshrrev_b32_e32 v15, v11, v3
	v_lshlrev_b32_e32 v11, v11, v15
	v_cmp_ne_u32_e32 vcc, v11, v3
	v_cndmask_b32_e64 v3, 0, 1, vcc
	v_or_b32_e32 v3, v15, v3
	v_mul_f16_sdwa v15, v4, v18 dst_sel:DWORD dst_unused:UNUSED_PAD src0_sel:WORD_1 src1_sel:DWORD
	v_fma_f16 v4, v4, v20, -v15
	v_add_u32_e32 v10, 0xfffffc10, v10
	v_cvt_f32_f16_e32 v4, v4
	v_lshl_or_b32 v11, v10, 12, v8
	v_cmp_gt_i32_e32 vcc, 1, v10
	v_cndmask_b32_e32 v3, v11, v3, vcc
	v_and_b32_e32 v11, 7, v3
	v_cmp_lt_i32_e32 vcc, 5, v11
	v_cmp_eq_u32_e64 s[0:1], 3, v11
	v_lshrrev_b32_e32 v11, 2, v3
	v_cvt_f64_f32_e32 v[3:4], v4
	s_or_b64 vcc, s[0:1], vcc
	v_addc_co_u32_e32 v11, vcc, 0, v11, vcc
	v_mul_f64 v[3:4], v[3:4], s[2:3]
	v_cmp_gt_i32_e32 vcc, 31, v10
	v_cndmask_b32_e32 v11, v32, v11, vcc
	v_cmp_ne_u32_e32 vcc, 0, v8
	v_cndmask_b32_e64 v8, 0, 1, vcc
	v_lshl_or_b32 v8, v8, 9, v32
	v_cmp_eq_u32_e32 vcc, s6, v10
	v_cndmask_b32_e32 v8, v11, v8, vcc
	v_and_or_b32 v3, v4, s4, v3
	v_lshrrev_b32_e32 v9, 16, v9
	v_cmp_ne_u32_e32 vcc, 0, v3
	v_and_or_b32 v15, v9, s7, v8
	v_cndmask_b32_e64 v3, 0, 1, vcc
	v_lshrrev_b32_e32 v8, 8, v4
	v_bfe_u32 v9, v4, 20, 11
	v_and_or_b32 v3, v8, s5, v3
	v_sub_u32_e32 v10, 0x3f1, v9
	v_or_b32_e32 v8, 0x1000, v3
	v_med3_i32 v10, v10, 0, 13
	v_lshrrev_b32_e32 v11, v10, v8
	v_lshlrev_b32_e32 v10, v10, v11
	v_cmp_ne_u32_e32 vcc, v10, v8
	v_cndmask_b32_e64 v8, 0, 1, vcc
	v_add_u32_e32 v16, 0xfffffc10, v9
	v_or_b32_e32 v8, v11, v8
	v_lshl_or_b32 v9, v16, 12, v3
	v_cmp_gt_i32_e32 vcc, 1, v16
	v_cndmask_b32_e32 v8, v9, v8, vcc
	v_and_b32_e32 v9, 7, v8
	v_cmp_lt_i32_e32 vcc, 5, v9
	v_cmp_eq_u32_e64 s[0:1], 3, v9
	v_lshrrev_b32_e32 v8, 2, v8
	s_or_b64 vcc, s[0:1], vcc
	v_addc_co_u32_e32 v8, vcc, 0, v8, vcc
	v_lshrrev_b32_e32 v14, 16, v19
	v_cmp_gt_i32_e32 vcc, 31, v16
	v_cndmask_b32_e32 v17, v32, v8, vcc
	v_mul_f16_e32 v8, v25, v14
	v_fma_f16 v8, v5, v19, v8
	v_cvt_f32_f16_e32 v10, v8
	v_mad_u64_u32 v[8:9], s[0:1], s8, 48, v[1:2]
	v_cmp_ne_u32_e32 vcc, 0, v3
	v_cvt_f64_f32_e32 v[10:11], v10
	v_cndmask_b32_e64 v3, 0, 1, vcc
	v_lshl_or_b32 v3, v3, 9, v32
	v_cmp_eq_u32_e32 vcc, s6, v16
	v_mul_f64 v[10:11], v[10:11], s[2:3]
	v_cndmask_b32_e32 v16, v17, v3, vcc
	v_mov_b32_e32 v3, v9
	v_lshrrev_b32_e32 v17, 16, v4
	v_mad_u64_u32 v[3:4], s[0:1], s9, 48, v[3:4]
	v_and_or_b32 v4, v17, s7, v16
	v_and_b32_e32 v9, 0xffff, v15
	v_lshl_or_b32 v4, v4, 16, v9
	v_mov_b32_e32 v9, v3
	v_and_or_b32 v3, v11, s4, v10
	v_cmp_ne_u32_e32 vcc, 0, v3
	global_store_dword v[8:9], v4, off
	v_cndmask_b32_e64 v3, 0, 1, vcc
	v_lshrrev_b32_e32 v4, 8, v11
	v_and_or_b32 v8, v4, s5, v3
	v_bfe_u32 v4, v11, 20, 11
	v_sub_u32_e32 v9, 0x3f1, v4
	v_or_b32_e32 v3, 0x1000, v8
	v_med3_i32 v9, v9, 0, 13
	v_lshrrev_b32_e32 v10, v9, v3
	v_lshlrev_b32_e32 v9, v9, v10
	v_cmp_ne_u32_e32 vcc, v9, v3
	v_cndmask_b32_e64 v3, 0, 1, vcc
	v_or_b32_e32 v3, v10, v3
	v_mul_f16_e32 v10, v25, v19
	v_fma_f16 v5, v5, v14, -v10
	v_add_u32_e32 v9, 0xfffffc10, v4
	v_cvt_f32_f16_e32 v5, v5
	v_lshl_or_b32 v4, v9, 12, v8
	v_cmp_gt_i32_e32 vcc, 1, v9
	v_cndmask_b32_e32 v3, v4, v3, vcc
	v_and_b32_e32 v4, 7, v3
	v_cmp_lt_i32_e32 vcc, 5, v4
	v_cmp_eq_u32_e64 s[0:1], 3, v4
	v_lshrrev_b32_e32 v10, 2, v3
	v_cvt_f64_f32_e32 v[3:4], v5
	s_or_b64 vcc, s[0:1], vcc
	v_addc_co_u32_e32 v5, vcc, 0, v10, vcc
	v_mul_f64 v[3:4], v[3:4], s[2:3]
	v_cmp_gt_i32_e32 vcc, 31, v9
	v_cndmask_b32_e32 v5, v32, v5, vcc
	v_cmp_ne_u32_e32 vcc, 0, v8
	v_cndmask_b32_e64 v8, 0, 1, vcc
	v_lshl_or_b32 v8, v8, 9, v32
	v_cmp_eq_u32_e32 vcc, s6, v9
	v_cndmask_b32_e32 v5, v5, v8, vcc
	v_and_or_b32 v3, v4, s4, v3
	v_lshrrev_b32_e32 v8, 16, v11
	v_cmp_ne_u32_e32 vcc, 0, v3
	v_and_or_b32 v14, v8, s7, v5
	v_cndmask_b32_e64 v3, 0, 1, vcc
	v_lshrrev_b32_e32 v5, 8, v4
	v_bfe_u32 v8, v4, 20, 11
	v_and_or_b32 v3, v5, s5, v3
	v_sub_u32_e32 v9, 0x3f1, v8
	v_or_b32_e32 v5, 0x1000, v3
	v_med3_i32 v9, v9, 0, 13
	v_lshrrev_b32_e32 v10, v9, v5
	v_lshlrev_b32_e32 v9, v9, v10
	v_cmp_ne_u32_e32 vcc, v9, v5
	v_cndmask_b32_e64 v5, 0, 1, vcc
	v_add_u32_e32 v15, 0xfffffc10, v8
	v_or_b32_e32 v5, v10, v5
	v_lshl_or_b32 v8, v15, 12, v3
	v_cmp_gt_i32_e32 vcc, 1, v15
	v_cndmask_b32_e32 v5, v8, v5, vcc
	v_and_b32_e32 v8, 7, v5
	s_waitcnt lgkmcnt(0)
	v_lshrrev_b32_e32 v16, 16, v12
	v_cmp_lt_i32_e32 vcc, 5, v8
	v_cmp_eq_u32_e64 s[0:1], 3, v8
	v_mul_f16_sdwa v8, v6, v16 dst_sel:DWORD dst_unused:UNUSED_PAD src0_sel:WORD_1 src1_sel:DWORD
	v_fma_f16 v8, v6, v12, v8
	v_cvt_f32_f16_e32 v10, v8
	v_lshrrev_b32_e32 v5, 2, v5
	s_or_b64 vcc, s[0:1], vcc
	v_addc_co_u32_e32 v5, vcc, 0, v5, vcc
	v_cmp_gt_i32_e32 vcc, 31, v15
	v_cvt_f64_f32_e32 v[10:11], v10
	v_cndmask_b32_e32 v5, v32, v5, vcc
	v_cmp_ne_u32_e32 vcc, 0, v3
	v_cndmask_b32_e64 v3, 0, 1, vcc
	v_lshl_or_b32 v3, v3, 9, v32
	v_cmp_eq_u32_e32 vcc, s6, v15
	v_cndmask_b32_e32 v15, v5, v3, vcc
	v_lshrrev_b32_e32 v17, 16, v4
	v_mul_f64 v[4:5], v[10:11], s[2:3]
	v_mad_u64_u32 v[8:9], s[0:1], s8, 52, v[1:2]
	v_mov_b32_e32 v3, v9
	v_mad_u64_u32 v[9:10], s[0:1], s9, 52, v[3:4]
	v_and_or_b32 v3, v17, s7, v15
	v_and_b32_e32 v10, 0xffff, v14
	v_lshl_or_b32 v3, v3, 16, v10
	global_store_dword v[8:9], v3, off
	v_and_or_b32 v3, v5, s4, v4
	v_cmp_ne_u32_e32 vcc, 0, v3
	v_cndmask_b32_e64 v3, 0, 1, vcc
	v_lshrrev_b32_e32 v4, 8, v5
	v_and_or_b32 v8, v4, s5, v3
	v_bfe_u32 v4, v5, 20, 11
	v_sub_u32_e32 v9, 0x3f1, v4
	v_or_b32_e32 v3, 0x1000, v8
	v_med3_i32 v9, v9, 0, 13
	v_lshrrev_b32_e32 v11, v9, v3
	v_lshlrev_b32_e32 v9, v9, v11
	v_cmp_ne_u32_e32 vcc, v9, v3
	v_cndmask_b32_e64 v3, 0, 1, vcc
	v_or_b32_e32 v3, v11, v3
	v_mul_f16_sdwa v11, v6, v12 dst_sel:DWORD dst_unused:UNUSED_PAD src0_sel:WORD_1 src1_sel:DWORD
	v_fma_f16 v6, v6, v16, -v11
	v_add_u32_e32 v9, 0xfffffc10, v4
	v_cvt_f32_f16_e32 v6, v6
	v_lshl_or_b32 v4, v9, 12, v8
	v_cmp_gt_i32_e32 vcc, 1, v9
	v_cndmask_b32_e32 v3, v4, v3, vcc
	v_and_b32_e32 v4, 7, v3
	v_cmp_lt_i32_e32 vcc, 5, v4
	v_cmp_eq_u32_e64 s[0:1], 3, v4
	v_lshrrev_b32_e32 v11, 2, v3
	v_cvt_f64_f32_e32 v[3:4], v6
	s_or_b64 vcc, s[0:1], vcc
	v_addc_co_u32_e32 v6, vcc, 0, v11, vcc
	v_mul_f64 v[3:4], v[3:4], s[2:3]
	v_cmp_gt_i32_e32 vcc, 31, v9
	v_cndmask_b32_e32 v6, v32, v6, vcc
	v_cmp_ne_u32_e32 vcc, 0, v8
	v_cndmask_b32_e64 v8, 0, 1, vcc
	v_lshl_or_b32 v8, v8, 9, v32
	v_cmp_eq_u32_e32 vcc, s6, v9
	v_cndmask_b32_e32 v6, v6, v8, vcc
	v_and_or_b32 v3, v4, s4, v3
	v_lshrrev_b32_e32 v5, 16, v5
	v_cmp_ne_u32_e32 vcc, 0, v3
	v_and_or_b32 v11, v5, s7, v6
	v_cndmask_b32_e64 v3, 0, 1, vcc
	v_lshrrev_b32_e32 v5, 8, v4
	v_bfe_u32 v6, v4, 20, 11
	v_and_or_b32 v3, v5, s5, v3
	v_sub_u32_e32 v8, 0x3f1, v6
	v_or_b32_e32 v5, 0x1000, v3
	v_med3_i32 v8, v8, 0, 13
	v_lshrrev_b32_e32 v9, v8, v5
	v_lshlrev_b32_e32 v8, v8, v9
	v_cmp_ne_u32_e32 vcc, v8, v5
	v_cndmask_b32_e64 v5, 0, 1, vcc
	v_add_u32_e32 v12, 0xfffffc10, v6
	v_or_b32_e32 v5, v9, v5
	v_lshl_or_b32 v6, v12, 12, v3
	v_cmp_gt_i32_e32 vcc, 1, v12
	v_cndmask_b32_e32 v5, v6, v5, vcc
	v_and_b32_e32 v6, 7, v5
	v_cmp_lt_i32_e32 vcc, 5, v6
	v_cmp_eq_u32_e64 s[0:1], 3, v6
	v_lshrrev_b32_e32 v5, 2, v5
	s_or_b64 vcc, s[0:1], vcc
	v_addc_co_u32_e32 v5, vcc, 0, v5, vcc
	v_lshrrev_b32_e32 v10, 16, v13
	v_cmp_gt_i32_e32 vcc, 31, v12
	v_cndmask_b32_e32 v14, v32, v5, vcc
	v_mul_f16_e32 v5, v24, v10
	v_fma_f16 v5, v7, v13, v5
	v_cvt_f32_f16_e32 v8, v5
	v_mad_u64_u32 v[5:6], s[0:1], s8, 56, v[1:2]
	v_cmp_ne_u32_e32 vcc, 0, v3
	v_cvt_f64_f32_e32 v[8:9], v8
	v_cndmask_b32_e64 v3, 0, 1, vcc
	v_lshl_or_b32 v3, v3, 9, v32
	v_cmp_eq_u32_e32 vcc, s6, v12
	v_mul_f64 v[8:9], v[8:9], s[2:3]
	v_cndmask_b32_e32 v12, v14, v3, vcc
	v_mov_b32_e32 v3, v6
	v_lshrrev_b32_e32 v14, 16, v4
	v_mad_u64_u32 v[3:4], s[0:1], s9, 56, v[3:4]
	v_and_or_b32 v4, v14, s7, v12
	v_and_b32_e32 v6, 0xffff, v11
	v_lshl_or_b32 v4, v4, 16, v6
	v_mov_b32_e32 v6, v3
	v_and_or_b32 v3, v9, s4, v8
	v_cmp_ne_u32_e32 vcc, 0, v3
	global_store_dword v[5:6], v4, off
	v_cndmask_b32_e64 v3, 0, 1, vcc
	v_lshrrev_b32_e32 v4, 8, v9
	v_and_or_b32 v5, v4, s5, v3
	v_bfe_u32 v4, v9, 20, 11
	v_sub_u32_e32 v6, 0x3f1, v4
	v_or_b32_e32 v3, 0x1000, v5
	v_med3_i32 v6, v6, 0, 13
	v_lshrrev_b32_e32 v8, v6, v3
	v_lshlrev_b32_e32 v6, v6, v8
	v_cmp_ne_u32_e32 vcc, v6, v3
	v_cndmask_b32_e64 v3, 0, 1, vcc
	v_or_b32_e32 v3, v8, v3
	v_mul_f16_e32 v8, v24, v13
	v_fma_f16 v7, v7, v10, -v8
	v_add_u32_e32 v6, 0xfffffc10, v4
	v_cvt_f32_f16_e32 v7, v7
	v_lshl_or_b32 v4, v6, 12, v5
	v_cmp_gt_i32_e32 vcc, 1, v6
	v_cndmask_b32_e32 v3, v4, v3, vcc
	v_and_b32_e32 v4, 7, v3
	v_cmp_lt_i32_e32 vcc, 5, v4
	v_cmp_eq_u32_e64 s[0:1], 3, v4
	v_lshrrev_b32_e32 v8, 2, v3
	v_cvt_f64_f32_e32 v[3:4], v7
	s_or_b64 vcc, s[0:1], vcc
	v_addc_co_u32_e32 v7, vcc, 0, v8, vcc
	v_mul_f64 v[3:4], v[3:4], s[2:3]
	v_cmp_gt_i32_e32 vcc, 31, v6
	v_cndmask_b32_e32 v7, v32, v7, vcc
	v_cmp_ne_u32_e32 vcc, 0, v5
	v_cndmask_b32_e64 v5, 0, 1, vcc
	v_lshl_or_b32 v5, v5, 9, v32
	v_cmp_eq_u32_e32 vcc, s6, v6
	v_cndmask_b32_e32 v5, v7, v5, vcc
	v_and_or_b32 v3, v4, s4, v3
	v_lshrrev_b32_e32 v6, 16, v9
	v_cmp_ne_u32_e32 vcc, 0, v3
	v_and_or_b32 v9, v6, s7, v5
	v_cndmask_b32_e64 v3, 0, 1, vcc
	v_lshrrev_b32_e32 v5, 8, v4
	v_bfe_u32 v6, v4, 20, 11
	v_and_or_b32 v3, v5, s5, v3
	v_sub_u32_e32 v7, 0x3f1, v6
	v_or_b32_e32 v5, 0x1000, v3
	v_med3_i32 v7, v7, 0, 13
	v_lshrrev_b32_e32 v8, v7, v5
	v_lshlrev_b32_e32 v7, v7, v8
	v_cmp_ne_u32_e32 vcc, v7, v5
	v_cndmask_b32_e64 v5, 0, 1, vcc
	v_add_u32_e32 v10, 0xfffffc10, v6
	v_or_b32_e32 v5, v8, v5
	v_lshl_or_b32 v6, v10, 12, v3
	v_cmp_gt_i32_e32 vcc, 1, v10
	v_cndmask_b32_e32 v5, v6, v5, vcc
	ds_read_b32 v11, v23 offset:64
	v_and_b32_e32 v6, 7, v5
	v_cmp_lt_i32_e32 vcc, 5, v6
	v_cmp_eq_u32_e64 s[0:1], 3, v6
	v_lshrrev_b32_e32 v5, 2, v5
	s_or_b64 vcc, s[0:1], vcc
	v_addc_co_u32_e32 v5, vcc, 0, v5, vcc
	v_cmp_gt_i32_e32 vcc, 31, v10
	s_waitcnt lgkmcnt(0)
	v_lshrrev_b32_e32 v13, 16, v11
	v_cndmask_b32_e32 v12, v32, v5, vcc
	v_mul_f16_sdwa v5, v0, v13 dst_sel:DWORD dst_unused:UNUSED_PAD src0_sel:WORD_1 src1_sel:DWORD
	v_fma_f16 v5, v0, v11, v5
	v_cvt_f32_f16_e32 v7, v5
	v_mad_u64_u32 v[5:6], s[0:1], s8, 60, v[1:2]
	v_cmp_ne_u32_e32 vcc, 0, v3
	v_cvt_f64_f32_e32 v[7:8], v7
	v_cndmask_b32_e64 v3, 0, 1, vcc
	v_lshl_or_b32 v3, v3, 9, v32
	v_cmp_eq_u32_e32 vcc, s6, v10
	v_mul_f64 v[7:8], v[7:8], s[2:3]
	v_cndmask_b32_e32 v10, v12, v3, vcc
	v_mov_b32_e32 v3, v6
	v_lshrrev_b32_e32 v12, 16, v4
	v_mad_u64_u32 v[3:4], s[0:1], s9, 60, v[3:4]
	v_and_or_b32 v4, v12, s7, v10
	v_and_b32_e32 v6, 0xffff, v9
	v_lshl_or_b32 v4, v4, 16, v6
	v_mov_b32_e32 v6, v3
	v_and_or_b32 v3, v8, s4, v7
	v_cmp_ne_u32_e32 vcc, 0, v3
	global_store_dword v[5:6], v4, off
	v_cndmask_b32_e64 v3, 0, 1, vcc
	v_lshrrev_b32_e32 v4, 8, v8
	v_and_or_b32 v5, v4, s5, v3
	v_bfe_u32 v4, v8, 20, 11
	v_sub_u32_e32 v6, 0x3f1, v4
	v_or_b32_e32 v3, 0x1000, v5
	v_med3_i32 v6, v6, 0, 13
	v_lshrrev_b32_e32 v7, v6, v3
	v_lshlrev_b32_e32 v6, v6, v7
	v_cmp_ne_u32_e32 vcc, v6, v3
	v_cndmask_b32_e64 v3, 0, 1, vcc
	v_or_b32_e32 v3, v7, v3
	v_mul_f16_sdwa v7, v0, v11 dst_sel:DWORD dst_unused:UNUSED_PAD src0_sel:WORD_1 src1_sel:DWORD
	v_fma_f16 v0, v0, v13, -v7
	v_add_u32_e32 v6, 0xfffffc10, v4
	v_cvt_f32_f16_e32 v0, v0
	v_lshl_or_b32 v4, v6, 12, v5
	v_cmp_gt_i32_e32 vcc, 1, v6
	v_cndmask_b32_e32 v3, v4, v3, vcc
	v_and_b32_e32 v4, 7, v3
	v_cmp_lt_i32_e32 vcc, 5, v4
	v_cmp_eq_u32_e64 s[0:1], 3, v4
	v_lshrrev_b32_e32 v7, 2, v3
	v_cvt_f64_f32_e32 v[3:4], v0
	s_or_b64 vcc, s[0:1], vcc
	v_addc_co_u32_e32 v0, vcc, 0, v7, vcc
	v_mul_f64 v[3:4], v[3:4], s[2:3]
	v_cmp_gt_i32_e32 vcc, 31, v6
	v_cndmask_b32_e32 v0, v32, v0, vcc
	v_cmp_ne_u32_e32 vcc, 0, v5
	v_cndmask_b32_e64 v5, 0, 1, vcc
	v_lshl_or_b32 v5, v5, 9, v32
	v_cmp_eq_u32_e32 vcc, s6, v6
	v_cndmask_b32_e32 v0, v0, v5, vcc
	v_and_or_b32 v3, v4, s4, v3
	v_lshrrev_b32_e32 v5, 16, v8
	v_cmp_ne_u32_e32 vcc, 0, v3
	v_and_or_b32 v0, v5, s7, v0
	v_cndmask_b32_e64 v3, 0, 1, vcc
	v_lshrrev_b32_e32 v5, 8, v4
	v_bfe_u32 v6, v4, 20, 11
	v_and_or_b32 v3, v5, s5, v3
	v_sub_u32_e32 v7, 0x3f1, v6
	v_or_b32_e32 v5, 0x1000, v3
	v_med3_i32 v7, v7, 0, 13
	v_lshrrev_b32_e32 v8, v7, v5
	v_lshlrev_b32_e32 v7, v7, v8
	v_cmp_ne_u32_e32 vcc, v7, v5
	v_cndmask_b32_e64 v5, 0, 1, vcc
	v_add_u32_e32 v6, 0xfffffc10, v6
	v_or_b32_e32 v5, v8, v5
	v_lshl_or_b32 v7, v6, 12, v3
	v_cmp_gt_i32_e32 vcc, 1, v6
	v_cndmask_b32_e32 v5, v7, v5, vcc
	v_and_b32_e32 v7, 7, v5
	v_cmp_lt_i32_e32 vcc, 5, v7
	v_cmp_eq_u32_e64 s[0:1], 3, v7
	v_lshrrev_b32_e32 v5, 2, v5
	s_or_b64 vcc, s[0:1], vcc
	v_addc_co_u32_e32 v5, vcc, 0, v5, vcc
	v_cmp_gt_i32_e32 vcc, 31, v6
	v_cndmask_b32_e32 v5, v32, v5, vcc
	v_cmp_ne_u32_e32 vcc, 0, v3
	v_cndmask_b32_e64 v3, 0, 1, vcc
	v_lshl_or_b32 v3, v3, 9, v32
	v_cmp_eq_u32_e32 vcc, s6, v6
	v_cndmask_b32_e32 v3, v5, v3, vcc
	v_lshrrev_b32_e32 v4, 16, v4
	v_and_or_b32 v3, v4, s7, v3
	v_and_b32_e32 v0, 0xffff, v0
	s_lshl_b64 s[0:1], s[8:9], 6
	v_lshl_or_b32 v3, v3, 16, v0
	v_mov_b32_e32 v4, s1
	v_add_co_u32_e32 v0, vcc, s0, v1
	v_addc_co_u32_e32 v1, vcc, v2, v4, vcc
	global_store_dword v[0:1], v3, off
.LBB0_2:
	s_endpgm
	.section	.rodata,"a",@progbits
	.p2align	6, 0x0
	.amdhsa_kernel bluestein_single_back_len17_dim1_half_op_CI_CI
		.amdhsa_group_segment_fixed_size 8160
		.amdhsa_private_segment_fixed_size 0
		.amdhsa_kernarg_size 104
		.amdhsa_user_sgpr_count 6
		.amdhsa_user_sgpr_private_segment_buffer 1
		.amdhsa_user_sgpr_dispatch_ptr 0
		.amdhsa_user_sgpr_queue_ptr 0
		.amdhsa_user_sgpr_kernarg_segment_ptr 1
		.amdhsa_user_sgpr_dispatch_id 0
		.amdhsa_user_sgpr_flat_scratch_init 0
		.amdhsa_user_sgpr_private_segment_size 0
		.amdhsa_uses_dynamic_stack 0
		.amdhsa_system_sgpr_private_segment_wavefront_offset 0
		.amdhsa_system_sgpr_workgroup_id_x 1
		.amdhsa_system_sgpr_workgroup_id_y 0
		.amdhsa_system_sgpr_workgroup_id_z 0
		.amdhsa_system_sgpr_workgroup_info 0
		.amdhsa_system_vgpr_workitem_id 0
		.amdhsa_next_free_vgpr 117
		.amdhsa_next_free_sgpr 30
		.amdhsa_reserve_vcc 1
		.amdhsa_reserve_flat_scratch 0
		.amdhsa_float_round_mode_32 0
		.amdhsa_float_round_mode_16_64 0
		.amdhsa_float_denorm_mode_32 3
		.amdhsa_float_denorm_mode_16_64 3
		.amdhsa_dx10_clamp 1
		.amdhsa_ieee_mode 1
		.amdhsa_fp16_overflow 0
		.amdhsa_exception_fp_ieee_invalid_op 0
		.amdhsa_exception_fp_denorm_src 0
		.amdhsa_exception_fp_ieee_div_zero 0
		.amdhsa_exception_fp_ieee_overflow 0
		.amdhsa_exception_fp_ieee_underflow 0
		.amdhsa_exception_fp_ieee_inexact 0
		.amdhsa_exception_int_div_zero 0
	.end_amdhsa_kernel
	.text
.Lfunc_end0:
	.size	bluestein_single_back_len17_dim1_half_op_CI_CI, .Lfunc_end0-bluestein_single_back_len17_dim1_half_op_CI_CI
                                        ; -- End function
	.section	.AMDGPU.csdata,"",@progbits
; Kernel info:
; codeLenInByte = 21044
; NumSgprs: 34
; NumVgprs: 117
; ScratchSize: 0
; MemoryBound: 0
; FloatMode: 240
; IeeeMode: 1
; LDSByteSize: 8160 bytes/workgroup (compile time only)
; SGPRBlocks: 4
; VGPRBlocks: 29
; NumSGPRsForWavesPerEU: 34
; NumVGPRsForWavesPerEU: 117
; Occupancy: 2
; WaveLimiterHint : 1
; COMPUTE_PGM_RSRC2:SCRATCH_EN: 0
; COMPUTE_PGM_RSRC2:USER_SGPR: 6
; COMPUTE_PGM_RSRC2:TRAP_HANDLER: 0
; COMPUTE_PGM_RSRC2:TGID_X_EN: 1
; COMPUTE_PGM_RSRC2:TGID_Y_EN: 0
; COMPUTE_PGM_RSRC2:TGID_Z_EN: 0
; COMPUTE_PGM_RSRC2:TIDIG_COMP_CNT: 0
	.type	__hip_cuid_ee9762900eeded83,@object ; @__hip_cuid_ee9762900eeded83
	.section	.bss,"aw",@nobits
	.globl	__hip_cuid_ee9762900eeded83
__hip_cuid_ee9762900eeded83:
	.byte	0                               ; 0x0
	.size	__hip_cuid_ee9762900eeded83, 1

	.ident	"AMD clang version 19.0.0git (https://github.com/RadeonOpenCompute/llvm-project roc-6.4.0 25133 c7fe45cf4b819c5991fe208aaa96edf142730f1d)"
	.section	".note.GNU-stack","",@progbits
	.addrsig
	.addrsig_sym __hip_cuid_ee9762900eeded83
	.amdgpu_metadata
---
amdhsa.kernels:
  - .args:
      - .actual_access:  read_only
        .address_space:  global
        .offset:         0
        .size:           8
        .value_kind:     global_buffer
      - .actual_access:  read_only
        .address_space:  global
        .offset:         8
        .size:           8
        .value_kind:     global_buffer
      - .actual_access:  read_only
        .address_space:  global
        .offset:         16
        .size:           8
        .value_kind:     global_buffer
      - .actual_access:  read_only
        .address_space:  global
        .offset:         24
        .size:           8
        .value_kind:     global_buffer
      - .actual_access:  read_only
        .address_space:  global
        .offset:         32
        .size:           8
        .value_kind:     global_buffer
      - .offset:         40
        .size:           8
        .value_kind:     by_value
      - .address_space:  global
        .offset:         48
        .size:           8
        .value_kind:     global_buffer
      - .address_space:  global
        .offset:         56
        .size:           8
        .value_kind:     global_buffer
      - .address_space:  global
        .offset:         64
        .size:           8
        .value_kind:     global_buffer
      - .address_space:  global
        .offset:         72
        .size:           8
        .value_kind:     global_buffer
      - .offset:         80
        .size:           4
        .value_kind:     by_value
      - .address_space:  global
        .offset:         88
        .size:           8
        .value_kind:     global_buffer
      - .address_space:  global
        .offset:         96
        .size:           8
        .value_kind:     global_buffer
    .group_segment_fixed_size: 8160
    .kernarg_segment_align: 8
    .kernarg_segment_size: 104
    .language:       OpenCL C
    .language_version:
      - 2
      - 0
    .max_flat_workgroup_size: 120
    .name:           bluestein_single_back_len17_dim1_half_op_CI_CI
    .private_segment_fixed_size: 0
    .sgpr_count:     34
    .sgpr_spill_count: 0
    .symbol:         bluestein_single_back_len17_dim1_half_op_CI_CI.kd
    .uniform_work_group_size: 1
    .uses_dynamic_stack: false
    .vgpr_count:     117
    .vgpr_spill_count: 0
    .wavefront_size: 64
amdhsa.target:   amdgcn-amd-amdhsa--gfx906
amdhsa.version:
  - 1
  - 2
...

	.end_amdgpu_metadata
